;; amdgpu-corpus repo=ROCm/rocFFT kind=compiled arch=gfx1030 opt=O3
	.text
	.amdgcn_target "amdgcn-amd-amdhsa--gfx1030"
	.amdhsa_code_object_version 6
	.protected	fft_rtc_fwd_len1836_factors_17_3_3_2_6_wgs_153_tpt_153_halfLds_sp_op_CI_CI_sbrr_dirReg ; -- Begin function fft_rtc_fwd_len1836_factors_17_3_3_2_6_wgs_153_tpt_153_halfLds_sp_op_CI_CI_sbrr_dirReg
	.globl	fft_rtc_fwd_len1836_factors_17_3_3_2_6_wgs_153_tpt_153_halfLds_sp_op_CI_CI_sbrr_dirReg
	.p2align	8
	.type	fft_rtc_fwd_len1836_factors_17_3_3_2_6_wgs_153_tpt_153_halfLds_sp_op_CI_CI_sbrr_dirReg,@function
fft_rtc_fwd_len1836_factors_17_3_3_2_6_wgs_153_tpt_153_halfLds_sp_op_CI_CI_sbrr_dirReg: ; @fft_rtc_fwd_len1836_factors_17_3_3_2_6_wgs_153_tpt_153_halfLds_sp_op_CI_CI_sbrr_dirReg
; %bb.0:
	s_clause 0x2
	s_load_dwordx4 s[16:19], s[4:5], 0x18
	s_load_dwordx4 s[12:15], s[4:5], 0x0
	;; [unrolled: 1-line block ×3, first 2 shown]
	v_mul_u32_u24_e32 v1, 0x1ad, v0
	v_mov_b32_e32 v3, 0
	v_mov_b32_e32 v41, 0
	;; [unrolled: 1-line block ×3, first 2 shown]
	s_waitcnt lgkmcnt(0)
	s_load_dwordx2 s[20:21], s[16:17], 0x0
	s_load_dwordx2 s[2:3], s[18:19], 0x0
	v_cmp_lt_u64_e64 s0, s[14:15], 2
	v_add_nc_u32_sdwa v7, s6, v1 dst_sel:DWORD dst_unused:UNUSED_PAD src0_sel:DWORD src1_sel:WORD_1
	v_mov_b32_e32 v8, v3
	s_and_b32 vcc_lo, exec_lo, s0
	s_cbranch_vccnz .LBB0_8
; %bb.1:
	s_load_dwordx2 s[0:1], s[4:5], 0x10
	v_mov_b32_e32 v41, 0
	v_mov_b32_e32 v42, 0
	s_add_u32 s6, s18, 8
	s_addc_u32 s7, s19, 0
	v_mov_b32_e32 v1, v41
	s_add_u32 s22, s16, 8
	v_mov_b32_e32 v2, v42
	s_addc_u32 s23, s17, 0
	s_mov_b64 s[26:27], 1
	s_waitcnt lgkmcnt(0)
	s_add_u32 s24, s0, 8
	s_addc_u32 s25, s1, 0
.LBB0_2:                                ; =>This Inner Loop Header: Depth=1
	s_load_dwordx2 s[28:29], s[24:25], 0x0
                                        ; implicit-def: $vgpr5_vgpr6
	s_mov_b32 s0, exec_lo
	s_waitcnt lgkmcnt(0)
	v_or_b32_e32 v4, s29, v8
	v_cmpx_ne_u64_e32 0, v[3:4]
	s_xor_b32 s1, exec_lo, s0
	s_cbranch_execz .LBB0_4
; %bb.3:                                ;   in Loop: Header=BB0_2 Depth=1
	v_cvt_f32_u32_e32 v4, s28
	v_cvt_f32_u32_e32 v5, s29
	s_sub_u32 s0, 0, s28
	s_subb_u32 s30, 0, s29
	v_fmac_f32_e32 v4, 0x4f800000, v5
	v_rcp_f32_e32 v4, v4
	v_mul_f32_e32 v4, 0x5f7ffffc, v4
	v_mul_f32_e32 v5, 0x2f800000, v4
	v_trunc_f32_e32 v5, v5
	v_fmac_f32_e32 v4, 0xcf800000, v5
	v_cvt_u32_f32_e32 v5, v5
	v_cvt_u32_f32_e32 v4, v4
	v_mul_lo_u32 v6, s0, v5
	v_mul_hi_u32 v9, s0, v4
	v_mul_lo_u32 v10, s30, v4
	v_add_nc_u32_e32 v6, v9, v6
	v_mul_lo_u32 v9, s0, v4
	v_add_nc_u32_e32 v6, v6, v10
	v_mul_hi_u32 v10, v4, v9
	v_mul_lo_u32 v11, v4, v6
	v_mul_hi_u32 v12, v4, v6
	v_mul_hi_u32 v13, v5, v9
	v_mul_lo_u32 v9, v5, v9
	v_mul_hi_u32 v14, v5, v6
	v_mul_lo_u32 v6, v5, v6
	v_add_co_u32 v10, vcc_lo, v10, v11
	v_add_co_ci_u32_e32 v11, vcc_lo, 0, v12, vcc_lo
	v_add_co_u32 v9, vcc_lo, v10, v9
	v_add_co_ci_u32_e32 v9, vcc_lo, v11, v13, vcc_lo
	v_add_co_ci_u32_e32 v10, vcc_lo, 0, v14, vcc_lo
	v_add_co_u32 v6, vcc_lo, v9, v6
	v_add_co_ci_u32_e32 v9, vcc_lo, 0, v10, vcc_lo
	v_add_co_u32 v4, vcc_lo, v4, v6
	v_add_co_ci_u32_e32 v5, vcc_lo, v5, v9, vcc_lo
	v_mul_hi_u32 v6, s0, v4
	v_mul_lo_u32 v10, s30, v4
	v_mul_lo_u32 v9, s0, v5
	v_add_nc_u32_e32 v6, v6, v9
	v_mul_lo_u32 v9, s0, v4
	v_add_nc_u32_e32 v6, v6, v10
	v_mul_hi_u32 v10, v4, v9
	v_mul_lo_u32 v11, v4, v6
	v_mul_hi_u32 v12, v4, v6
	v_mul_hi_u32 v13, v5, v9
	v_mul_lo_u32 v9, v5, v9
	v_mul_hi_u32 v14, v5, v6
	v_mul_lo_u32 v6, v5, v6
	v_add_co_u32 v10, vcc_lo, v10, v11
	v_add_co_ci_u32_e32 v11, vcc_lo, 0, v12, vcc_lo
	v_add_co_u32 v9, vcc_lo, v10, v9
	v_add_co_ci_u32_e32 v9, vcc_lo, v11, v13, vcc_lo
	v_add_co_ci_u32_e32 v10, vcc_lo, 0, v14, vcc_lo
	v_add_co_u32 v6, vcc_lo, v9, v6
	v_add_co_ci_u32_e32 v9, vcc_lo, 0, v10, vcc_lo
	v_add_co_u32 v6, vcc_lo, v4, v6
	v_add_co_ci_u32_e32 v11, vcc_lo, v5, v9, vcc_lo
	v_mul_hi_u32 v13, v7, v6
	v_mad_u64_u32 v[9:10], null, v8, v6, 0
	v_mad_u64_u32 v[4:5], null, v7, v11, 0
	v_mad_u64_u32 v[11:12], null, v8, v11, 0
	v_add_co_u32 v4, vcc_lo, v13, v4
	v_add_co_ci_u32_e32 v5, vcc_lo, 0, v5, vcc_lo
	v_add_co_u32 v4, vcc_lo, v4, v9
	v_add_co_ci_u32_e32 v4, vcc_lo, v5, v10, vcc_lo
	v_add_co_ci_u32_e32 v5, vcc_lo, 0, v12, vcc_lo
	v_add_co_u32 v9, vcc_lo, v4, v11
	v_add_co_ci_u32_e32 v6, vcc_lo, 0, v5, vcc_lo
	v_mul_lo_u32 v10, s29, v9
	v_mad_u64_u32 v[4:5], null, s28, v9, 0
	v_mul_lo_u32 v11, s28, v6
	v_sub_co_u32 v4, vcc_lo, v7, v4
	v_add3_u32 v5, v5, v11, v10
	v_sub_nc_u32_e32 v10, v8, v5
	v_subrev_co_ci_u32_e64 v10, s0, s29, v10, vcc_lo
	v_add_co_u32 v11, s0, v9, 2
	v_add_co_ci_u32_e64 v12, s0, 0, v6, s0
	v_sub_co_u32 v13, s0, v4, s28
	v_sub_co_ci_u32_e32 v5, vcc_lo, v8, v5, vcc_lo
	v_subrev_co_ci_u32_e64 v10, s0, 0, v10, s0
	v_cmp_le_u32_e32 vcc_lo, s28, v13
	v_cmp_eq_u32_e64 s0, s29, v5
	v_cndmask_b32_e64 v13, 0, -1, vcc_lo
	v_cmp_le_u32_e32 vcc_lo, s29, v10
	v_cndmask_b32_e64 v14, 0, -1, vcc_lo
	v_cmp_le_u32_e32 vcc_lo, s28, v4
	;; [unrolled: 2-line block ×3, first 2 shown]
	v_cndmask_b32_e64 v15, 0, -1, vcc_lo
	v_cmp_eq_u32_e32 vcc_lo, s29, v10
	v_cndmask_b32_e64 v4, v15, v4, s0
	v_cndmask_b32_e32 v10, v14, v13, vcc_lo
	v_add_co_u32 v13, vcc_lo, v9, 1
	v_add_co_ci_u32_e32 v14, vcc_lo, 0, v6, vcc_lo
	v_cmp_ne_u32_e32 vcc_lo, 0, v10
	v_cndmask_b32_e32 v5, v14, v12, vcc_lo
	v_cndmask_b32_e32 v10, v13, v11, vcc_lo
	v_cmp_ne_u32_e32 vcc_lo, 0, v4
	v_cndmask_b32_e32 v6, v6, v5, vcc_lo
	v_cndmask_b32_e32 v5, v9, v10, vcc_lo
.LBB0_4:                                ;   in Loop: Header=BB0_2 Depth=1
	s_andn2_saveexec_b32 s0, s1
	s_cbranch_execz .LBB0_6
; %bb.5:                                ;   in Loop: Header=BB0_2 Depth=1
	v_cvt_f32_u32_e32 v4, s28
	s_sub_i32 s1, 0, s28
	v_rcp_iflag_f32_e32 v4, v4
	v_mul_f32_e32 v4, 0x4f7ffffe, v4
	v_cvt_u32_f32_e32 v4, v4
	v_mul_lo_u32 v5, s1, v4
	v_mul_hi_u32 v5, v4, v5
	v_add_nc_u32_e32 v4, v4, v5
	v_mul_hi_u32 v4, v7, v4
	v_mul_lo_u32 v5, v4, s28
	v_add_nc_u32_e32 v6, 1, v4
	v_sub_nc_u32_e32 v5, v7, v5
	v_subrev_nc_u32_e32 v9, s28, v5
	v_cmp_le_u32_e32 vcc_lo, s28, v5
	v_cndmask_b32_e32 v5, v5, v9, vcc_lo
	v_cndmask_b32_e32 v4, v4, v6, vcc_lo
	v_cmp_le_u32_e32 vcc_lo, s28, v5
	v_add_nc_u32_e32 v6, 1, v4
	v_cndmask_b32_e32 v5, v4, v6, vcc_lo
	v_mov_b32_e32 v6, v3
.LBB0_6:                                ;   in Loop: Header=BB0_2 Depth=1
	s_or_b32 exec_lo, exec_lo, s0
	v_mul_lo_u32 v4, v6, s28
	v_mul_lo_u32 v11, v5, s29
	s_load_dwordx2 s[0:1], s[22:23], 0x0
	v_mad_u64_u32 v[9:10], null, v5, s28, 0
	s_load_dwordx2 s[28:29], s[6:7], 0x0
	s_add_u32 s26, s26, 1
	s_addc_u32 s27, s27, 0
	s_add_u32 s6, s6, 8
	s_addc_u32 s7, s7, 0
	s_add_u32 s22, s22, 8
	v_add3_u32 v4, v10, v11, v4
	v_sub_co_u32 v7, vcc_lo, v7, v9
	s_addc_u32 s23, s23, 0
	s_add_u32 s24, s24, 8
	v_sub_co_ci_u32_e32 v4, vcc_lo, v8, v4, vcc_lo
	s_addc_u32 s25, s25, 0
	s_waitcnt lgkmcnt(0)
	v_mul_lo_u32 v8, s0, v4
	v_mul_lo_u32 v9, s1, v7
	v_mad_u64_u32 v[41:42], null, s0, v7, v[41:42]
	v_mul_lo_u32 v4, s28, v4
	v_mul_lo_u32 v10, s29, v7
	v_mad_u64_u32 v[1:2], null, s28, v7, v[1:2]
	v_cmp_ge_u64_e64 s0, s[26:27], s[14:15]
	v_add3_u32 v42, v9, v42, v8
	v_add3_u32 v2, v10, v2, v4
	s_and_b32 vcc_lo, exec_lo, s0
	s_cbranch_vccnz .LBB0_9
; %bb.7:                                ;   in Loop: Header=BB0_2 Depth=1
	v_mov_b32_e32 v8, v6
	v_mov_b32_e32 v7, v5
	s_branch .LBB0_2
.LBB0_8:
	v_mov_b32_e32 v1, v41
	v_mov_b32_e32 v5, v7
	;; [unrolled: 1-line block ×4, first 2 shown]
.LBB0_9:
	s_load_dwordx2 s[0:1], s[4:5], 0x28
	v_mul_hi_u32 v3, 0x1ac5702, v0
	s_lshl_b64 s[6:7], s[14:15], 3
	v_mov_b32_e32 v26, 0
	v_mov_b32_e32 v25, 0
	s_add_u32 s4, s18, s6
	s_addc_u32 s5, s19, s7
                                        ; implicit-def: $vgpr34
                                        ; implicit-def: $vgpr30
                                        ; implicit-def: $vgpr22
                                        ; implicit-def: $vgpr24
                                        ; implicit-def: $vgpr18
                                        ; implicit-def: $vgpr14
                                        ; implicit-def: $vgpr8
                                        ; implicit-def: $vgpr10
                                        ; implicit-def: $vgpr16
                                        ; implicit-def: $vgpr38
                                        ; implicit-def: $vgpr40
                                        ; implicit-def: $vgpr36
                                        ; implicit-def: $vgpr32
                                        ; implicit-def: $vgpr28
                                        ; implicit-def: $vgpr20
                                        ; implicit-def: $vgpr12
	v_mul_u32_u24_e32 v3, 0x99, v3
	v_sub_nc_u32_e32 v3, v0, v3
	s_waitcnt lgkmcnt(0)
	v_cmp_gt_u64_e32 vcc_lo, s[0:1], v[5:6]
	v_cmp_gt_u32_e64 s0, 0x6c, v3
	s_and_b32 s1, vcc_lo, s0
	s_and_saveexec_b32 s14, s1
	s_cbranch_execz .LBB0_11
; %bb.10:
	s_add_u32 s6, s16, s6
	s_addc_u32 s7, s17, s7
	v_mad_u64_u32 v[7:8], null, s20, v3, 0
	s_load_dwordx2 s[6:7], s[6:7], 0x0
	v_add_nc_u32_e32 v21, 0x6c, v3
	v_add_nc_u32_e32 v22, 0xd8, v3
	;; [unrolled: 1-line block ×3, first 2 shown]
	v_lshlrev_b64 v[9:10], 3, v[41:42]
	v_add_nc_u32_e32 v24, 0x1b0, v3
	v_mad_u64_u32 v[11:12], null, s20, v21, 0
	v_mad_u64_u32 v[13:14], null, s20, v22, 0
	v_mov_b32_e32 v0, v8
	v_mad_u64_u32 v[15:16], null, s20, v23, 0
	v_add_nc_u32_e32 v27, 0x360, v3
	v_mov_b32_e32 v4, v12
	v_mad_u64_u32 v[19:20], null, s21, v3, v[0:1]
	v_mov_b32_e32 v0, v14
	v_add_nc_u32_e32 v37, 0x438, v3
	v_mad_u64_u32 v[20:21], null, s21, v21, v[4:5]
	s_waitcnt lgkmcnt(0)
	v_mul_lo_u32 v8, s7, v5
	v_mul_lo_u32 v25, s6, v6
	v_mad_u64_u32 v[17:18], null, s6, v5, 0
	v_mov_b32_e32 v12, v16
	v_mad_u64_u32 v[21:22], null, s21, v22, v[0:1]
	v_add_nc_u32_e32 v22, 0x21c, v3
	v_add_nc_u32_e32 v44, 0x5e8, v3
	;; [unrolled: 1-line block ×3, first 2 shown]
	v_add3_u32 v18, v18, v25, v8
	v_mov_b32_e32 v8, v19
	v_mov_b32_e32 v14, v21
	v_lshlrev_b64 v[16:17], 3, v[17:18]
	v_mad_u64_u32 v[18:19], null, s21, v23, v[12:13]
	v_mov_b32_e32 v12, v20
	v_lshlrev_b64 v[7:8], 3, v[7:8]
	v_mad_u64_u32 v[19:20], null, s20, v22, 0
	v_add_co_u32 v0, s1, s8, v16
	v_add_co_ci_u32_e64 v4, s1, s9, v17, s1
	v_lshlrev_b64 v[11:12], 3, v[11:12]
	v_add_co_u32 v47, s1, v0, v9
	v_add_co_ci_u32_e64 v48, s1, v4, v10, s1
	v_lshlrev_b64 v[9:10], 3, v[13:14]
	v_mad_u64_u32 v[13:14], null, s20, v24, 0
	v_mov_b32_e32 v16, v18
	v_add_co_u32 v7, s1, v47, v7
	v_add_co_ci_u32_e64 v8, s1, v48, v8, s1
	v_add_co_u32 v11, s1, v47, v11
	v_mov_b32_e32 v0, v14
	v_mov_b32_e32 v4, v20
	v_lshlrev_b64 v[14:15], 3, v[15:16]
	v_add_co_ci_u32_e64 v12, s1, v48, v12, s1
	v_mad_u64_u32 v[16:17], null, s21, v24, v[0:1]
	v_add_co_u32 v9, s1, v47, v9
	v_add_nc_u32_e32 v23, 0x288, v3
	v_add_co_ci_u32_e64 v10, s1, v48, v10, s1
	v_mad_u64_u32 v[17:18], null, s21, v22, v[4:5]
	v_add_co_u32 v21, s1, v47, v14
	v_add_co_ci_u32_e64 v22, s1, v48, v15, s1
	v_mov_b32_e32 v14, v16
	v_add_nc_u32_e32 v24, 0x2f4, v3
	v_mad_u64_u32 v[15:16], null, s20, v23, 0
	v_mov_b32_e32 v20, v17
	s_clause 0x3
	global_load_dwordx2 v[25:26], v[7:8], off
	global_load_dwordx2 v[33:34], v[11:12], off
	;; [unrolled: 1-line block ×4, first 2 shown]
	v_mad_u64_u32 v[17:18], null, s20, v24, 0
	v_lshlrev_b64 v[7:8], 3, v[13:14]
	v_lshlrev_b64 v[9:10], 3, v[19:20]
	v_mov_b32_e32 v0, v16
	v_mad_u64_u32 v[19:20], null, s20, v27, 0
	v_mov_b32_e32 v4, v18
	v_mad_u64_u32 v[11:12], null, s21, v23, v[0:1]
	v_add_co_u32 v7, s1, v47, v7
	v_mad_u64_u32 v[12:13], null, s21, v24, v[4:5]
	v_mov_b32_e32 v0, v20
	v_add_nc_u32_e32 v4, 0x3cc, v3
	v_mov_b32_e32 v16, v11
	v_add_co_ci_u32_e64 v8, s1, v48, v8, s1
	v_add_co_u32 v9, s1, v47, v9
	v_mov_b32_e32 v18, v12
	v_lshlrev_b64 v[11:12], 3, v[15:16]
	v_mad_u64_u32 v[15:16], null, s21, v27, v[0:1]
	v_mad_u64_u32 v[27:28], null, s20, v4, 0
	v_lshlrev_b64 v[13:14], 3, v[17:18]
	v_add_co_ci_u32_e64 v10, s1, v48, v10, s1
	v_add_co_u32 v11, s1, v47, v11
	v_mov_b32_e32 v20, v15
	v_mov_b32_e32 v0, v28
	v_mad_u64_u32 v[15:16], null, s20, v37, 0
	v_add_co_ci_u32_e64 v12, s1, v48, v12, s1
	v_mad_u64_u32 v[35:36], null, s21, v4, v[0:1]
	v_add_nc_u32_e32 v4, 0x4a4, v3
	v_add_co_u32 v31, s1, v47, v13
	v_add_co_ci_u32_e64 v32, s1, v48, v14, s1
	s_clause 0x3
	global_load_dwordx2 v[23:24], v[7:8], off
	global_load_dwordx2 v[17:18], v[9:10], off
	;; [unrolled: 1-line block ×4, first 2 shown]
	v_mov_b32_e32 v0, v16
	v_mad_u64_u32 v[11:12], null, s20, v4, 0
	v_lshlrev_b64 v[9:10], 3, v[19:20]
	v_mov_b32_e32 v28, v35
	v_mad_u64_u32 v[19:20], null, s21, v37, v[0:1]
	v_add_nc_u32_e32 v37, 0x510, v3
	v_mov_b32_e32 v0, v12
	v_lshlrev_b64 v[27:28], 3, v[27:28]
	v_add_co_u32 v9, s1, v47, v9
	v_mad_u64_u32 v[31:32], null, s20, v37, 0
	v_mov_b32_e32 v16, v19
	v_mad_u64_u32 v[19:20], null, s21, v4, v[0:1]
	v_add_nc_u32_e32 v4, 0x57c, v3
	v_add_co_ci_u32_e64 v10, s1, v48, v10, s1
	v_mov_b32_e32 v0, v32
	v_lshlrev_b64 v[15:16], 3, v[15:16]
	v_mad_u64_u32 v[35:36], null, s20, v4, 0
	v_mov_b32_e32 v12, v19
	v_mad_u64_u32 v[19:20], null, s21, v37, v[0:1]
	v_mad_u64_u32 v[37:38], null, s20, v44, 0
	v_add_co_u32 v27, s1, v47, v27
	v_mov_b32_e32 v0, v36
	v_lshlrev_b64 v[11:12], 3, v[11:12]
	v_add_co_ci_u32_e64 v28, s1, v48, v28, s1
	v_add_co_u32 v15, s1, v47, v15
	v_mad_u64_u32 v[41:42], null, s21, v4, v[0:1]
	v_mov_b32_e32 v0, v38
	v_add_nc_u32_e32 v4, 0x6c0, v3
	v_mad_u64_u32 v[42:43], null, s20, v49, 0
	v_add_co_ci_u32_e64 v16, s1, v48, v16, s1
	v_mad_u64_u32 v[44:45], null, s21, v44, v[0:1]
	v_mad_u64_u32 v[45:46], null, s20, v4, 0
	v_mov_b32_e32 v32, v19
	v_mov_b32_e32 v0, v43
	v_add_co_u32 v39, s1, v47, v11
	v_add_co_ci_u32_e64 v40, s1, v48, v12, s1
	s_clause 0x3
	global_load_dwordx2 v[9:10], v[9:10], off
	global_load_dwordx2 v[11:12], v[27:28], off
	global_load_dwordx2 v[15:16], v[15:16], off
	global_load_dwordx2 v[19:20], v[39:40], off
	v_lshlrev_b64 v[27:28], 3, v[31:32]
	v_mad_u64_u32 v[31:32], null, s21, v49, v[0:1]
	v_mov_b32_e32 v0, v46
	v_mov_b32_e32 v36, v41
	;; [unrolled: 1-line block ×3, first 2 shown]
	v_add_co_u32 v27, s1, v47, v27
	v_mad_u64_u32 v[39:40], null, s21, v4, v[0:1]
	v_lshlrev_b64 v[35:36], 3, v[35:36]
	v_mov_b32_e32 v43, v31
	v_add_co_ci_u32_e64 v28, s1, v48, v28, s1
	v_lshlrev_b64 v[37:38], 3, v[37:38]
	v_add_co_u32 v31, s1, v47, v35
	v_mov_b32_e32 v46, v39
	v_add_co_ci_u32_e64 v32, s1, v48, v36, s1
	v_lshlrev_b64 v[35:36], 3, v[42:43]
	v_add_co_u32 v37, s1, v47, v37
	v_lshlrev_b64 v[39:40], 3, v[45:46]
	v_add_co_ci_u32_e64 v38, s1, v48, v38, s1
	v_add_co_u32 v41, s1, v47, v35
	v_add_co_ci_u32_e64 v42, s1, v48, v36, s1
	v_add_co_u32 v43, s1, v47, v39
	v_add_co_ci_u32_e64 v44, s1, v48, v40, s1
	s_clause 0x4
	global_load_dwordx2 v[27:28], v[27:28], off
	global_load_dwordx2 v[31:32], v[31:32], off
	;; [unrolled: 1-line block ×5, first 2 shown]
.LBB0_11:
	s_or_b32 exec_lo, exec_lo, s14
	s_and_saveexec_b32 s1, s0
	s_cbranch_execz .LBB0_13
; %bb.12:
	s_waitcnt vmcnt(0)
	v_sub_f32_e32 v63, v34, v38
	v_add_f32_e32 v59, v33, v37
	v_sub_f32_e32 v64, v30, v40
	v_add_f32_e32 v57, v29, v39
	v_sub_f32_e32 v62, v22, v36
	v_mul_f32_e32 v0, 0xbe3c28d5, v63
	v_add_f32_e32 v55, v21, v35
	v_mul_f32_e32 v4, 0x3eb8f4ab, v64
	v_sub_f32_e32 v60, v24, v32
	v_mul_f32_e32 v42, 0xbf06c442, v62
	v_fmamk_f32 v41, v59, 0xbf7ba420, v0
	v_fma_f32 v0, 0xbf7ba420, v59, -v0
	v_fmamk_f32 v43, v57, 0x3f6eb680, v4
	v_add_f32_e32 v54, v23, v31
	v_mul_f32_e32 v44, 0x3f2c7751, v60
	v_add_f32_e32 v41, v25, v41
	v_fmamk_f32 v45, v55, 0xbf59a7d5, v42
	v_fma_f32 v4, 0x3f6eb680, v57, -v4
	v_add_f32_e32 v0, v25, v0
	v_sub_f32_e32 v56, v18, v28
	v_add_f32_e32 v41, v41, v43
	v_fmamk_f32 v46, v54, 0x3f3d2fb0, v44
	v_fma_f32 v42, 0xbf59a7d5, v55, -v42
	v_add_f32_e32 v0, v0, v4
	v_add_f32_e32 v53, v17, v27
	;; [unrolled: 1-line block ×3, first 2 shown]
	v_mul_f32_e32 v43, 0xbf4c4adb, v56
	v_sub_f32_e32 v61, v14, v20
	v_fma_f32 v44, 0x3f3d2fb0, v54, -v44
	v_add_f32_e32 v0, v0, v42
	v_add_f32_e32 v4, v41, v46
	v_mul_f32_e32 v46, 0xbf06c442, v63
	v_add_f32_e32 v52, v13, v19
	v_fmamk_f32 v45, v53, 0xbf1a4643, v43
	v_mul_f32_e32 v41, 0x3f65296c, v61
	v_sub_f32_e32 v58, v8, v16
	v_add_f32_e32 v0, v0, v44
	v_fma_f32 v43, 0xbf1a4643, v53, -v43
	v_fmamk_f32 v44, v59, 0xbf59a7d5, v46
	v_mul_f32_e32 v47, 0x3f65296c, v64
	v_add_f32_e32 v4, v4, v45
	v_fmamk_f32 v42, v52, 0x3ee437d1, v41
	v_add_f32_e32 v49, v7, v15
	v_mul_f32_e32 v45, 0xbf763a35, v58
	v_sub_f32_e32 v50, v10, v12
	v_add_f32_e32 v0, v0, v43
	v_add_f32_e32 v43, v25, v44
	v_fmamk_f32 v44, v57, 0x3ee437d1, v47
	v_mul_f32_e32 v65, 0xbf7ee86f, v62
	v_add_f32_e32 v4, v4, v42
	v_fmamk_f32 v42, v49, 0xbe8c1d8e, v45
	v_add_f32_e32 v51, v9, v11
	v_mul_f32_e32 v48, 0x3f7ee86f, v50
	v_add_f32_e32 v43, v43, v44
	v_fmamk_f32 v44, v55, 0x3dbcf732, v65
	v_mul_f32_e32 v66, 0x3f4c4adb, v60
	v_fma_f32 v41, 0x3ee437d1, v52, -v41
	v_add_f32_e32 v4, v42, v4
	v_fmamk_f32 v42, v51, 0x3dbcf732, v48
	v_fma_f32 v46, 0xbf59a7d5, v59, -v46
	v_add_f32_e32 v43, v43, v44
	v_fmamk_f32 v44, v54, 0xbf1a4643, v66
	v_mul_f32_e32 v67, 0xbeb8f4ab, v56
	v_add_f32_e32 v41, v0, v41
	v_fma_f32 v45, 0xbe8c1d8e, v49, -v45
	v_add_f32_e32 v0, v4, v42
	v_add_f32_e32 v4, v25, v46
	v_fma_f32 v42, 0x3ee437d1, v57, -v47
	v_add_f32_e32 v43, v43, v44
	v_fmamk_f32 v44, v53, 0x3f6eb680, v67
	v_mul_f32_e32 v46, 0xbe3c28d5, v61
	v_add_f32_e32 v41, v45, v41
	v_add_f32_e32 v4, v4, v42
	v_fma_f32 v42, 0x3dbcf732, v55, -v65
	v_add_f32_e32 v43, v43, v44
	v_fmamk_f32 v44, v52, 0xbf7ba420, v46
	v_mul_f32_e32 v45, 0xbf4c4adb, v63
	v_mul_f32_e32 v47, 0x3f2c7751, v58
	v_add_f32_e32 v4, v4, v42
	v_fma_f32 v42, 0xbf1a4643, v54, -v66
	v_add_f32_e32 v43, v43, v44
	v_fmamk_f32 v44, v59, 0xbf1a4643, v45
	v_mul_f32_e32 v65, 0x3f763a35, v64
	v_fmamk_f32 v66, v49, 0x3f3d2fb0, v47
	v_add_f32_e32 v4, v4, v42
	v_fma_f32 v42, 0x3f6eb680, v53, -v67
	v_add_f32_e32 v44, v25, v44
	v_fmamk_f32 v67, v57, 0xbe8c1d8e, v65
	v_mul_f32_e32 v68, 0xbeb8f4ab, v62
	v_add_f32_e32 v43, v66, v43
	v_add_f32_e32 v4, v4, v42
	v_fma_f32 v42, 0xbf7ba420, v52, -v46
	v_add_f32_e32 v44, v44, v67
	v_fmamk_f32 v46, v55, 0x3f6eb680, v68
	v_mul_f32_e32 v66, 0xbf06c442, v60
	v_mul_f32_e32 v67, 0xbf763a35, v50
	v_fma_f32 v48, 0x3dbcf732, v51, -v48
	v_mul_f32_e32 v69, 0x3f7ee86f, v56
	v_add_f32_e32 v44, v44, v46
	v_fmamk_f32 v46, v54, 0xbf59a7d5, v66
	v_add_f32_e32 v42, v4, v42
	v_fmamk_f32 v70, v51, 0xbe8c1d8e, v67
	v_add_f32_e32 v4, v41, v48
	v_mul_f32_e32 v48, 0xbf2c7751, v61
	v_add_f32_e32 v44, v44, v46
	v_fmamk_f32 v46, v53, 0x3dbcf732, v69
	v_fma_f32 v47, 0x3f3d2fb0, v49, -v47
	v_add_f32_e32 v41, v43, v70
	v_fma_f32 v43, 0xbf1a4643, v59, -v45
	v_fmamk_f32 v45, v52, 0x3f3d2fb0, v48
	v_add_f32_e32 v44, v44, v46
	v_mul_f32_e32 v46, 0xbe3c28d5, v58
	v_add_f32_e32 v42, v47, v42
	v_add_f32_e32 v43, v25, v43
	v_fma_f32 v47, 0xbe8c1d8e, v57, -v65
	v_fma_f32 v65, 0xbe8c1d8e, v51, -v67
	v_add_f32_e32 v44, v44, v45
	v_fmamk_f32 v45, v49, 0xbf7ba420, v46
	v_mul_f32_e32 v67, 0xbf763a35, v63
	v_add_f32_e32 v43, v43, v47
	v_fma_f32 v47, 0x3f6eb680, v55, -v68
	v_add_f32_e32 v42, v42, v65
	v_add_f32_e32 v44, v45, v44
	v_fmamk_f32 v45, v59, 0xbe8c1d8e, v67
	v_mul_f32_e32 v65, 0x3f06c442, v64
	v_add_f32_e32 v43, v43, v47
	v_fma_f32 v47, 0xbf59a7d5, v54, -v66
	v_mul_f32_e32 v66, 0x3f65296c, v50
	v_add_f32_e32 v45, v25, v45
	v_fmamk_f32 v68, v57, 0xbf59a7d5, v65
	v_mul_f32_e32 v70, 0x3f2c7751, v62
	v_add_f32_e32 v43, v43, v47
	v_fma_f32 v47, 0x3dbcf732, v53, -v69
	v_fmamk_f32 v69, v51, 0x3ee437d1, v66
	v_add_f32_e32 v45, v45, v68
	v_fmamk_f32 v68, v55, 0x3f3d2fb0, v70
	v_mul_f32_e32 v71, 0xbf65296c, v60
	v_add_f32_e32 v47, v43, v47
	v_fma_f32 v48, 0x3f3d2fb0, v52, -v48
	v_add_f32_e32 v43, v44, v69
	v_add_f32_e32 v44, v45, v68
	v_fmamk_f32 v45, v54, 0x3ee437d1, v71
	v_mul_f32_e32 v68, 0xbe3c28d5, v56
	v_add_f32_e32 v47, v47, v48
	v_fma_f32 v46, 0xbf7ba420, v49, -v46
	v_fma_f32 v48, 0xbe8c1d8e, v59, -v67
	v_add_f32_e32 v44, v44, v45
	v_fmamk_f32 v45, v53, 0xbf7ba420, v68
	v_mul_f32_e32 v67, 0x3f7ee86f, v61
	v_add_f32_e32 v46, v46, v47
	v_add_f32_e32 v47, v25, v48
	v_fma_f32 v48, 0xbf59a7d5, v57, -v65
	v_add_f32_e32 v44, v44, v45
	v_fmamk_f32 v45, v52, 0x3dbcf732, v67
	v_mul_f32_e32 v65, 0xbeb8f4ab, v58
	v_fma_f32 v66, 0x3ee437d1, v51, -v66
	v_add_f32_e32 v47, v47, v48
	v_fma_f32 v48, 0x3f3d2fb0, v55, -v70
	v_add_f32_e32 v45, v44, v45
	v_fmamk_f32 v69, v49, 0x3f6eb680, v65
	v_add_f32_e32 v44, v46, v66
	v_mul_f32_e32 v46, 0xbf7ee86f, v63
	v_add_f32_e32 v47, v47, v48
	v_fma_f32 v48, 0x3ee437d1, v54, -v71
	v_add_f32_e32 v45, v69, v45
	v_mul_f32_e32 v66, 0xbf4c4adb, v50
	v_fmamk_f32 v69, v59, 0x3dbcf732, v46
	v_mul_f32_e32 v70, 0xbe3c28d5, v64
	v_add_f32_e32 v47, v47, v48
	v_fma_f32 v48, 0xbf7ba420, v53, -v68
	v_fmamk_f32 v68, v51, 0xbf1a4643, v66
	v_add_f32_e32 v69, v25, v69
	v_fmamk_f32 v71, v57, 0xbf7ba420, v70
	v_mul_f32_e32 v72, 0x3f763a35, v62
	v_add_f32_e32 v47, v47, v48
	v_fma_f32 v48, 0x3dbcf732, v52, -v67
	v_add_f32_e32 v45, v45, v68
	v_add_f32_e32 v67, v69, v71
	v_fmamk_f32 v68, v55, 0xbe8c1d8e, v72
	v_mul_f32_e32 v69, 0x3eb8f4ab, v60
	v_add_f32_e32 v47, v47, v48
	v_fma_f32 v48, 0x3f6eb680, v49, -v65
	v_fma_f32 v46, 0x3dbcf732, v59, -v46
	v_add_f32_e32 v65, v67, v68
	v_fmamk_f32 v67, v54, 0x3f6eb680, v69
	v_mul_f32_e32 v68, 0xbf65296c, v56
	v_add_f32_e32 v47, v48, v47
	v_add_f32_e32 v46, v25, v46
	v_fma_f32 v48, 0xbf7ba420, v57, -v70
	v_add_f32_e32 v65, v65, v67
	v_fmamk_f32 v67, v53, 0x3ee437d1, v68
	v_mul_f32_e32 v70, 0xbf06c442, v61
	v_fma_f32 v66, 0xbf1a4643, v51, -v66
	v_add_f32_e32 v48, v46, v48
	v_fma_f32 v71, 0xbe8c1d8e, v55, -v72
	v_add_f32_e32 v65, v65, v67
	v_fmamk_f32 v67, v52, 0xbf59a7d5, v70
	v_mul_f32_e32 v72, 0x3f4c4adb, v58
	v_add_f32_e32 v46, v47, v66
	v_add_f32_e32 v47, v48, v71
	v_fma_f32 v48, 0x3f6eb680, v54, -v69
	v_add_f32_e32 v65, v65, v67
	v_fmamk_f32 v66, v49, 0xbf1a4643, v72
	v_mul_f32_e32 v67, 0x3f2c7751, v50
	v_mul_f32_e32 v69, 0xbf65296c, v63
	v_add_f32_e32 v47, v47, v48
	v_fma_f32 v48, 0x3ee437d1, v53, -v68
	v_add_f32_e32 v65, v66, v65
	v_fmamk_f32 v66, v51, 0x3f3d2fb0, v67
	v_fmamk_f32 v68, v59, 0x3ee437d1, v69
	v_mul_f32_e32 v71, 0xbf4c4adb, v64
	v_add_f32_e32 v48, v47, v48
	v_fma_f32 v70, 0xbf59a7d5, v52, -v70
	v_add_f32_e32 v47, v65, v66
	v_add_f32_e32 v65, v25, v68
	v_fmamk_f32 v66, v57, 0xbf1a4643, v71
	v_mul_f32_e32 v68, 0x3e3c28d5, v62
	v_add_f32_e32 v48, v48, v70
	v_fma_f32 v70, 0xbf1a4643, v49, -v72
	v_fma_f32 v69, 0x3ee437d1, v59, -v69
	v_add_f32_e32 v65, v65, v66
	v_fmamk_f32 v66, v55, 0xbf7ba420, v68
	v_mul_f32_e32 v72, 0x3f763a35, v60
	v_add_f32_e32 v48, v70, v48
	v_add_f32_e32 v69, v25, v69
	v_fma_f32 v70, 0xbf1a4643, v57, -v71
	v_add_f32_e32 v65, v65, v66
	v_fmamk_f32 v66, v54, 0xbe8c1d8e, v72
	v_mul_f32_e32 v71, 0x3f2c7751, v56
	v_fma_f32 v67, 0x3f3d2fb0, v51, -v67
	v_add_f32_e32 v69, v69, v70
	v_fma_f32 v68, 0xbf7ba420, v55, -v68
	v_add_f32_e32 v65, v65, v66
	v_fmamk_f32 v66, v53, 0x3f3d2fb0, v71
	v_mul_f32_e32 v70, 0xbeb8f4ab, v61
	v_add_f32_e32 v48, v48, v67
	v_add_f32_e32 v67, v69, v68
	v_fma_f32 v68, 0xbe8c1d8e, v54, -v72
	v_add_f32_e32 v65, v65, v66
	v_fmamk_f32 v66, v52, 0x3f6eb680, v70
	v_mul_f32_e32 v69, 0xbf7ee86f, v58
	v_mul_f32_e32 v72, 0xbf2c7751, v63
	v_add_f32_e32 v67, v67, v68
	v_fma_f32 v68, 0x3f3d2fb0, v53, -v71
	v_add_f32_e32 v65, v65, v66
	v_fmamk_f32 v66, v49, 0x3dbcf732, v69
	v_fmamk_f32 v71, v59, 0x3f3d2fb0, v72
	v_mul_f32_e32 v73, 0xbf7ee86f, v64
	v_add_f32_e32 v67, v67, v68
	v_fma_f32 v68, 0x3f6eb680, v52, -v70
	v_add_f32_e32 v66, v66, v65
	v_add_f32_e32 v65, v25, v71
	v_fmamk_f32 v70, v57, 0x3dbcf732, v73
	v_mul_f32_e32 v71, 0xbf4c4adb, v62
	v_add_f32_e32 v67, v67, v68
	v_fma_f32 v68, 0x3dbcf732, v49, -v69
	v_mul_f32_e32 v69, 0xbf06c442, v50
	v_add_f32_e32 v65, v65, v70
	v_fmamk_f32 v70, v55, 0xbf1a4643, v71
	v_mul_f32_e32 v74, 0xbe3c28d5, v60
	v_add_f32_e32 v67, v68, v67
	v_fma_f32 v68, 0xbf59a7d5, v51, -v69
	v_fma_f32 v72, 0x3f3d2fb0, v59, -v72
	v_add_f32_e32 v70, v65, v70
	v_fmamk_f32 v75, v54, 0xbf7ba420, v74
	v_mul_f32_e32 v76, 0x3f06c442, v56
	v_add_f32_e32 v65, v67, v68
	v_add_f32_e32 v67, v25, v72
	v_fma_f32 v68, 0x3dbcf732, v57, -v73
	v_add_f32_e32 v70, v70, v75
	v_fmamk_f32 v72, v53, 0xbf59a7d5, v76
	v_mul_f32_e32 v73, 0x3f763a35, v61
	v_add_f32_e32 v75, v25, v33
	v_add_f32_e32 v67, v67, v68
	v_fma_f32 v68, 0xbf1a4643, v55, -v71
	v_add_f32_e32 v70, v70, v72
	v_fmamk_f32 v71, v52, 0xbe8c1d8e, v73
	v_add_f32_e32 v72, v75, v29
	v_mul_f32_e32 v63, 0xbeb8f4ab, v63
	v_add_f32_e32 v67, v67, v68
	v_fma_f32 v68, 0xbf7ba420, v54, -v74
	v_add_f32_e32 v70, v70, v71
	v_add_f32_e32 v71, v72, v21
	v_fmamk_f32 v74, v59, 0x3f6eb680, v63
	v_mul_f32_e32 v64, 0xbf2c7751, v64
	v_add_f32_e32 v67, v67, v68
	v_fma_f32 v68, 0xbf59a7d5, v53, -v76
	v_add_f32_e32 v71, v71, v23
	v_fma_f32 v59, 0x3f6eb680, v59, -v63
	v_fmamk_f32 v63, v57, 0x3f3d2fb0, v64
	v_mul_f32_e32 v62, 0xbf65296c, v62
	v_add_f32_e32 v67, v67, v68
	v_add_f32_e32 v68, v71, v17
	;; [unrolled: 1-line block ×3, first 2 shown]
	v_fma_f32 v57, 0x3f3d2fb0, v57, -v64
	v_add_f32_e32 v25, v25, v59
	v_mul_f32_e32 v75, 0x3f65296c, v58
	v_add_f32_e32 v68, v68, v13
	v_add_f32_e32 v63, v71, v63
	v_fma_f32 v59, 0xbe8c1d8e, v52, -v73
	v_add_f32_e32 v25, v25, v57
	v_mul_f32_e32 v57, 0xbf7ee86f, v60
	v_add_f32_e32 v64, v68, v7
	v_fmamk_f32 v68, v55, 0x3ee437d1, v62
	v_fma_f32 v55, 0x3ee437d1, v55, -v62
	v_mul_f32_e32 v56, 0xbf763a35, v56
	v_add_f32_e32 v59, v67, v59
	v_add_f32_e32 v60, v64, v9
	;; [unrolled: 1-line block ×4, first 2 shown]
	v_fmamk_f32 v63, v54, 0x3dbcf732, v57
	v_fma_f32 v54, 0x3dbcf732, v54, -v57
	v_add_f32_e32 v55, v60, v11
	v_fma_f32 v57, 0x3ee437d1, v49, -v75
	v_mul_f32_e32 v58, 0xbf06c442, v58
	v_add_f32_e32 v60, v62, v63
	v_fmamk_f32 v62, v53, 0xbe8c1d8e, v56
	v_add_f32_e32 v55, v15, v55
	v_add_f32_e32 v25, v25, v54
	v_fma_f32 v53, 0xbe8c1d8e, v53, -v56
	v_mul_f32_e32 v54, 0xbf4c4adb, v61
	v_add_f32_e32 v56, v57, v59
	v_add_f32_e32 v55, v19, v55
	;; [unrolled: 1-line block ×4, first 2 shown]
	v_fmamk_f32 v53, v52, 0xbf1a4643, v54
	v_fma_f32 v52, 0xbf1a4643, v52, -v54
	v_add_f32_e32 v55, v27, v55
	v_fmamk_f32 v72, v49, 0x3ee437d1, v75
	v_fmamk_f32 v54, v51, 0xbf59a7d5, v69
	v_add_f32_e32 v53, v57, v53
	v_mul_f32_e32 v57, 0x3eb8f4ab, v50
	v_add_f32_e32 v55, v31, v55
	v_add_f32_e32 v25, v25, v52
	v_fma_f32 v52, 0xbf59a7d5, v49, -v58
	v_mul_f32_e32 v50, 0xbe3c28d5, v50
	v_fmamk_f32 v49, v49, 0xbf59a7d5, v58
	v_add_f32_e32 v55, v35, v55
	v_fmamk_f32 v58, v51, 0x3f6eb680, v57
	v_add_f32_e32 v25, v52, v25
	v_fma_f32 v52, 0xbf7ba420, v51, -v50
	v_fma_f32 v57, 0x3f6eb680, v51, -v57
	v_add_f32_e32 v55, v39, v55
	v_add_f32_e32 v70, v72, v70
	;; [unrolled: 1-line block ×3, first 2 shown]
	v_fmamk_f32 v50, v51, 0xbf7ba420, v50
	v_add_f32_e32 v25, v25, v52
	v_add_f32_e32 v51, v37, v55
	v_mad_u32_u24 v52, 0x44, v3, 0
	v_add_f32_e32 v53, v56, v57
	v_add_f32_e32 v54, v66, v54
	;; [unrolled: 1-line block ×4, first 2 shown]
	ds_write2_b32 v52, v51, v25 offset1:1
	ds_write2_b32 v52, v53, v65 offset0:2 offset1:3
	ds_write2_b32 v52, v48, v46 offset0:4 offset1:5
	;; [unrolled: 1-line block ×7, first 2 shown]
	ds_write_b32 v52, v49 offset:64
.LBB0_13:
	s_or_b32 exec_lo, exec_lo, s1
	v_lshl_add_u32 v0, v3, 2, 0
	s_waitcnt vmcnt(0) lgkmcnt(0)
	s_barrier
	buffer_gl0_inv
	v_add_nc_u32_e32 v53, 0x800, v0
	v_add_nc_u32_e32 v54, 0x1200, v0
	;; [unrolled: 1-line block ×5, first 2 shown]
	ds_read2_b32 v[41:42], v0 offset1:153
	ds_read2_b32 v[51:52], v53 offset0:100 offset1:253
	ds_read2_b32 v[49:50], v54 offset0:72 offset1:225
	;; [unrolled: 1-line block ×5, first 2 shown]
	s_waitcnt lgkmcnt(0)
	s_barrier
	buffer_gl0_inv
	s_and_saveexec_b32 s1, s0
	s_cbranch_execz .LBB0_15
; %bb.14:
	v_add_f32_e32 v4, v26, v34
	v_sub_f32_e32 v33, v33, v37
	v_add_f32_e32 v34, v34, v38
	v_add_f32_e32 v37, v30, v40
	v_sub_f32_e32 v29, v29, v39
	v_add_f32_e32 v4, v4, v30
	v_mul_f32_e32 v30, 0xbeb8f4ab, v33
	v_mul_f32_e32 v39, 0xbf2c7751, v33
	;; [unrolled: 1-line block ×4, first 2 shown]
	v_add_f32_e32 v4, v4, v22
	v_mul_f32_e32 v59, 0xbf763a35, v33
	v_mul_f32_e32 v60, 0xbf4c4adb, v33
	;; [unrolled: 1-line block ×4, first 2 shown]
	v_add_f32_e32 v4, v4, v24
	v_mul_f32_e32 v62, 0xbf2c7751, v29
	v_mul_f32_e32 v63, 0xbf7ee86f, v29
	v_fmamk_f32 v66, v34, 0x3f6eb680, v30
	v_fma_f32 v30, 0x3f6eb680, v34, -v30
	v_add_f32_e32 v4, v4, v18
	v_fmamk_f32 v67, v34, 0x3f3d2fb0, v39
	v_fma_f32 v39, 0x3f3d2fb0, v34, -v39
	v_mul_f32_e32 v65, 0xbe3c28d5, v29
	v_fmamk_f32 v68, v34, 0x3ee437d1, v57
	v_add_f32_e32 v4, v4, v14
	v_fma_f32 v57, 0x3ee437d1, v34, -v57
	v_fmamk_f32 v69, v34, 0x3dbcf732, v58
	v_fma_f32 v58, 0x3dbcf732, v34, -v58
	v_fmamk_f32 v70, v34, 0xbe8c1d8e, v59
	v_add_f32_e32 v4, v4, v8
	v_fma_f32 v59, 0xbe8c1d8e, v34, -v59
	v_fmamk_f32 v71, v34, 0xbf1a4643, v60
	v_fma_f32 v60, 0xbf1a4643, v34, -v60
	;; [unrolled: 5-line block ×4, first 2 shown]
	v_add_f32_e32 v30, v26, v30
	v_add_f32_e32 v4, v16, v4
	;; [unrolled: 1-line block ×8, first 2 shown]
	v_fma_f32 v62, 0xbf7ba420, v37, -v65
	v_mul_f32_e32 v63, 0x3f763a35, v29
	v_mul_f32_e32 v64, 0xbf4c4adb, v29
	v_add_f32_e32 v4, v28, v4
	v_add_f32_e32 v67, v26, v67
	;; [unrolled: 1-line block ×18, first 2 shown]
	v_fmamk_f32 v62, v37, 0xbe8c1d8e, v63
	v_mul_f32_e32 v66, 0x3f65296c, v29
	v_add_f32_e32 v4, v38, v4
	v_mul_f32_e32 v38, 0x3f06c442, v29
	v_fma_f32 v63, 0xbe8c1d8e, v37, -v63
	v_mul_f32_e32 v29, 0x3eb8f4ab, v29
	v_sub_f32_e32 v21, v21, v35
	v_fmamk_f32 v76, v37, 0xbf7ba420, v65
	v_fmamk_f32 v65, v37, 0xbf59a7d5, v38
	v_fma_f32 v38, 0xbf59a7d5, v37, -v38
	v_add_f32_e32 v60, v60, v63
	v_fma_f32 v35, 0x3ee437d1, v37, -v66
	v_fmamk_f32 v63, v37, 0x3f6eb680, v29
	v_add_f32_e32 v22, v22, v36
	v_mul_f32_e32 v36, 0xbf65296c, v21
	v_fma_f32 v29, 0x3f6eb680, v37, -v29
	v_fmamk_f32 v75, v37, 0xbf1a4643, v64
	v_fma_f32 v64, 0xbf1a4643, v37, -v64
	v_add_f32_e32 v38, v59, v38
	v_add_f32_e32 v59, v71, v62
	v_fmamk_f32 v62, v37, 0x3ee437d1, v66
	v_add_f32_e32 v35, v61, v35
	v_add_f32_e32 v37, v73, v63
	v_mul_f32_e32 v61, 0xbf4c4adb, v21
	v_fmamk_f32 v63, v22, 0x3ee437d1, v36
	v_fma_f32 v36, 0x3ee437d1, v22, -v36
	v_add_f32_e32 v26, v26, v29
	v_mul_f32_e32 v29, 0x3e3c28d5, v21
	v_add_f32_e32 v40, v68, v75
	v_fmamk_f32 v66, v22, 0xbf1a4643, v61
	v_add_f32_e32 v30, v30, v36
	v_fma_f32 v36, 0xbf1a4643, v22, -v61
	v_fmamk_f32 v61, v22, 0xbf7ba420, v29
	v_add_f32_e32 v34, v67, v74
	v_add_f32_e32 v57, v57, v64
	;; [unrolled: 1-line block ×3, first 2 shown]
	v_mul_f32_e32 v63, 0x3f763a35, v21
	v_fma_f32 v29, 0xbf7ba420, v22, -v29
	v_add_f32_e32 v36, v39, v36
	v_add_f32_e32 v39, v40, v61
	v_mul_f32_e32 v40, 0x3f2c7751, v21
	v_add_f32_e32 v34, v34, v66
	v_fmamk_f32 v61, v22, 0xbe8c1d8e, v63
	v_add_f32_e32 v29, v57, v29
	v_fma_f32 v57, 0xbe8c1d8e, v22, -v63
	v_mul_f32_e32 v63, 0xbeb8f4ab, v21
	v_fmamk_f32 v66, v22, 0x3f3d2fb0, v40
	v_fma_f32 v40, 0x3f3d2fb0, v22, -v40
	v_sub_f32_e32 v23, v23, v31
	v_add_f32_e32 v57, v58, v57
	v_fmamk_f32 v58, v22, 0x3f6eb680, v63
	v_fma_f32 v63, 0x3f6eb680, v22, -v63
	v_add_f32_e32 v38, v38, v40
	v_mul_f32_e32 v40, 0xbf7ee86f, v21
	v_mul_f32_e32 v21, 0xbf06c442, v21
	v_add_f32_e32 v58, v59, v58
	v_add_f32_e32 v59, v60, v63
	;; [unrolled: 1-line block ×3, first 2 shown]
	v_fmamk_f32 v31, v22, 0x3dbcf732, v40
	v_fma_f32 v40, 0x3dbcf732, v22, -v40
	v_fmamk_f32 v60, v22, 0xbf59a7d5, v21
	v_mul_f32_e32 v32, 0xbf7ee86f, v23
	v_fma_f32 v21, 0xbf59a7d5, v22, -v21
	v_add_f32_e32 v64, v69, v76
	v_add_f32_e32 v22, v35, v40
	;; [unrolled: 1-line block ×3, first 2 shown]
	v_fmamk_f32 v37, v24, 0x3dbcf732, v32
	v_mul_f32_e32 v40, 0xbe3c28d5, v23
	v_add_f32_e32 v21, v26, v21
	v_fma_f32 v26, 0x3dbcf732, v24, -v32
	v_mul_f32_e32 v32, 0x3f763a35, v23
	v_add_f32_e32 v33, v33, v37
	v_fmamk_f32 v37, v24, 0xbf7ba420, v40
	v_fma_f32 v40, 0xbf7ba420, v24, -v40
	v_add_f32_e32 v26, v30, v26
	v_fmamk_f32 v30, v24, 0xbe8c1d8e, v32
	v_mul_f32_e32 v60, 0x3eb8f4ab, v23
	v_fma_f32 v32, 0xbe8c1d8e, v24, -v32
	v_add_f32_e32 v61, v64, v61
	v_add_f32_e32 v34, v34, v37
	;; [unrolled: 1-line block ×4, first 2 shown]
	v_fmamk_f32 v37, v24, 0x3f6eb680, v60
	v_mul_f32_e32 v39, 0xbf65296c, v23
	v_fma_f32 v40, 0x3f6eb680, v24, -v60
	v_add_f32_e32 v29, v29, v32
	v_mul_f32_e32 v32, 0xbf06c442, v23
	v_add_f32_e32 v62, v72, v62
	v_add_f32_e32 v37, v61, v37
	v_fmamk_f32 v60, v24, 0x3ee437d1, v39
	v_add_f32_e32 v40, v57, v40
	v_fma_f32 v39, 0x3ee437d1, v24, -v39
	v_fmamk_f32 v57, v24, 0xbf59a7d5, v32
	v_mul_f32_e32 v61, 0x3f4c4adb, v23
	v_add_f32_e32 v31, v62, v31
	v_mul_f32_e32 v23, 0x3f2c7751, v23
	v_add_f32_e32 v38, v38, v39
	v_add_f32_e32 v39, v58, v57
	v_fmamk_f32 v57, v24, 0xbf1a4643, v61
	v_sub_f32_e32 v17, v17, v27
	v_add_f32_e32 v18, v18, v28
	v_fma_f32 v32, 0xbf59a7d5, v24, -v32
	v_fma_f32 v27, 0xbf1a4643, v24, -v61
	v_add_f32_e32 v31, v31, v57
	v_fmamk_f32 v57, v24, 0x3f3d2fb0, v23
	v_mul_f32_e32 v28, 0xbf763a35, v17
	v_fma_f32 v23, 0x3f3d2fb0, v24, -v23
	v_add_f32_e32 v22, v22, v27
	v_mul_f32_e32 v27, 0x3f06c442, v17
	v_add_f32_e32 v24, v35, v57
	v_fmamk_f32 v35, v18, 0xbe8c1d8e, v28
	v_fma_f32 v28, 0xbe8c1d8e, v18, -v28
	v_add_f32_e32 v21, v21, v23
	v_mul_f32_e32 v23, 0x3f2c7751, v17
	v_fmamk_f32 v57, v18, 0xbf59a7d5, v27
	v_add_f32_e32 v33, v33, v35
	v_add_f32_e32 v26, v26, v28
	v_fma_f32 v27, 0xbf59a7d5, v18, -v27
	v_fmamk_f32 v28, v18, 0x3f3d2fb0, v23
	v_mul_f32_e32 v35, 0xbf65296c, v17
	v_fma_f32 v23, 0x3f3d2fb0, v18, -v23
	v_add_f32_e32 v34, v34, v57
	v_add_f32_e32 v27, v36, v27
	;; [unrolled: 1-line block ×3, first 2 shown]
	v_mul_f32_e32 v30, 0xbe3c28d5, v17
	v_fmamk_f32 v36, v18, 0x3ee437d1, v35
	v_add_f32_e32 v23, v29, v23
	v_fma_f32 v29, 0x3ee437d1, v18, -v35
	v_mul_f32_e32 v35, 0x3f7ee86f, v17
	v_fmamk_f32 v57, v18, 0xbf7ba420, v30
	v_fma_f32 v30, 0xbf7ba420, v18, -v30
	v_add_f32_e32 v32, v59, v32
	v_add_f32_e32 v36, v37, v36
	v_fmamk_f32 v37, v18, 0x3dbcf732, v35
	v_fma_f32 v35, 0x3dbcf732, v18, -v35
	v_add_f32_e32 v30, v38, v30
	v_mul_f32_e32 v38, 0xbeb8f4ab, v17
	v_mul_f32_e32 v17, 0xbf4c4adb, v17
	v_sub_f32_e32 v13, v13, v19
	v_add_f32_e32 v32, v32, v35
	v_add_f32_e32 v14, v14, v20
	v_fmamk_f32 v19, v18, 0x3f6eb680, v38
	v_fma_f32 v35, 0x3f6eb680, v18, -v38
	v_fmamk_f32 v38, v18, 0xbf1a4643, v17
	v_mul_f32_e32 v20, 0xbf4c4adb, v13
	v_fma_f32 v17, 0xbf1a4643, v18, -v17
	v_add_f32_e32 v19, v31, v19
	v_mul_f32_e32 v31, 0x3f763a35, v13
	v_add_f32_e32 v18, v24, v38
	v_fmamk_f32 v24, v14, 0xbf1a4643, v20
	v_fma_f32 v20, 0xbf1a4643, v14, -v20
	v_add_f32_e32 v17, v21, v17
	v_mul_f32_e32 v21, 0xbeb8f4ab, v13
	v_add_f32_e32 v22, v22, v35
	v_add_f32_e32 v24, v33, v24
	v_fmamk_f32 v33, v14, 0xbe8c1d8e, v31
	v_add_f32_e32 v20, v26, v20
	v_fma_f32 v26, 0xbe8c1d8e, v14, -v31
	v_fmamk_f32 v31, v14, 0x3f6eb680, v21
	v_mul_f32_e32 v35, 0xbf06c442, v13
	v_fma_f32 v21, 0x3f6eb680, v14, -v21
	v_add_f32_e32 v29, v40, v29
	v_add_f32_e32 v26, v27, v26
	;; [unrolled: 1-line block ×3, first 2 shown]
	v_mul_f32_e32 v31, 0x3f7ee86f, v13
	v_fmamk_f32 v28, v14, 0xbf59a7d5, v35
	v_add_f32_e32 v21, v23, v21
	v_fma_f32 v23, 0xbf59a7d5, v14, -v35
	v_add_f32_e32 v33, v34, v33
	v_fmamk_f32 v35, v14, 0x3dbcf732, v31
	v_fma_f32 v31, 0x3dbcf732, v14, -v31
	v_mul_f32_e32 v34, 0xbf2c7751, v13
	v_sub_f32_e32 v7, v7, v15
	v_add_f32_e32 v23, v29, v23
	v_add_f32_e32 v8, v8, v16
	;; [unrolled: 1-line block ×3, first 2 shown]
	v_mul_f32_e32 v31, 0xbe3c28d5, v13
	v_fmamk_f32 v29, v14, 0x3f3d2fb0, v34
	v_fma_f32 v34, 0x3f3d2fb0, v14, -v34
	v_mul_f32_e32 v13, 0x3f65296c, v13
	v_mul_f32_e32 v16, 0xbf06c442, v7
	v_fmamk_f32 v15, v14, 0xbf7ba420, v31
	v_fma_f32 v31, 0xbf7ba420, v14, -v31
	v_add_f32_e32 v32, v32, v34
	v_fmamk_f32 v34, v14, 0x3ee437d1, v13
	v_fma_f32 v13, 0x3ee437d1, v14, -v13
	v_add_f32_e32 v15, v19, v15
	v_fmamk_f32 v19, v8, 0xbf59a7d5, v16
	v_add_f32_e32 v14, v22, v31
	v_mul_f32_e32 v22, 0x3f65296c, v7
	v_add_f32_e32 v13, v17, v13
	v_fma_f32 v16, 0xbf59a7d5, v8, -v16
	v_add_f32_e32 v17, v19, v24
	v_mul_f32_e32 v19, 0xbf7ee86f, v7
	v_fmamk_f32 v24, v8, 0x3ee437d1, v22
	v_fma_f32 v22, 0x3ee437d1, v8, -v22
	v_add_f32_e32 v16, v16, v20
	v_mul_f32_e32 v20, 0x3f4c4adb, v7
	v_fmamk_f32 v31, v8, 0x3dbcf732, v19
	v_add_f32_e32 v28, v36, v28
	v_add_f32_e32 v22, v22, v26
	v_fma_f32 v19, 0x3dbcf732, v8, -v19
	v_fmamk_f32 v26, v8, 0xbf1a4643, v20
	v_add_f32_e32 v27, v31, v27
	v_mul_f32_e32 v31, 0xbeb8f4ab, v7
	v_fma_f32 v20, 0xbf1a4643, v8, -v20
	v_add_f32_e32 v19, v19, v21
	v_add_f32_e32 v21, v26, v28
	;; [unrolled: 1-line block ×3, first 2 shown]
	v_fmamk_f32 v28, v8, 0x3f6eb680, v31
	v_add_f32_e32 v20, v20, v23
	v_fma_f32 v23, 0x3f6eb680, v8, -v31
	v_mul_f32_e32 v31, 0x3f2c7751, v7
	v_add_f32_e32 v64, v65, v66
	v_mul_f32_e32 v26, 0xbe3c28d5, v7
	v_mul_f32_e32 v7, 0xbf763a35, v7
	v_add_f32_e32 v23, v23, v30
	v_fmamk_f32 v30, v8, 0x3f3d2fb0, v31
	v_sub_f32_e32 v9, v9, v11
	v_add_f32_e32 v60, v64, v60
	v_add_f32_e32 v18, v18, v34
	v_add_f32_e32 v24, v24, v33
	v_add_f32_e32 v11, v30, v15
	v_fma_f32 v15, 0x3f3d2fb0, v8, -v31
	v_fmamk_f32 v33, v8, 0xbf7ba420, v26
	v_fma_f32 v26, 0xbf7ba420, v8, -v26
	v_fmamk_f32 v30, v8, 0xbe8c1d8e, v7
	v_add_f32_e32 v10, v10, v12
	v_mul_f32_e32 v12, 0xbe3c28d5, v9
	v_fma_f32 v7, 0xbe8c1d8e, v8, -v7
	v_add_f32_e32 v8, v15, v14
	v_mul_f32_e32 v14, 0x3eb8f4ab, v9
	v_add_f32_e32 v40, v60, v57
	v_add_f32_e32 v15, v30, v18
	v_fmamk_f32 v18, v10, 0xbf7ba420, v12
	v_add_f32_e32 v7, v7, v13
	v_fma_f32 v12, 0xbf7ba420, v10, -v12
	v_fmamk_f32 v13, v10, 0x3f6eb680, v14
	v_mul_f32_e32 v30, 0xbf06c442, v9
	v_fma_f32 v14, 0x3f6eb680, v10, -v14
	v_add_f32_e32 v37, v39, v37
	v_add_f32_e32 v35, v40, v35
	;; [unrolled: 1-line block ×5, first 2 shown]
	v_fmamk_f32 v16, v10, 0xbf59a7d5, v30
	v_mul_f32_e32 v18, 0x3f2c7751, v9
	v_add_f32_e32 v14, v22, v14
	v_fma_f32 v22, 0xbf59a7d5, v10, -v30
	v_mul_f32_e32 v24, 0xbf4c4adb, v9
	v_add_f32_e32 v29, v37, v29
	v_add_f32_e32 v28, v28, v35
	;; [unrolled: 1-line block ×3, first 2 shown]
	v_fmamk_f32 v27, v10, 0x3f3d2fb0, v18
	v_fma_f32 v18, 0x3f3d2fb0, v10, -v18
	v_add_f32_e32 v19, v19, v22
	v_fmamk_f32 v22, v10, 0xbf1a4643, v24
	v_mul_f32_e32 v30, 0x3f65296c, v9
	v_add_f32_e32 v29, v33, v29
	v_add_f32_e32 v26, v26, v32
	;; [unrolled: 1-line block ×4, first 2 shown]
	v_fma_f32 v20, 0xbf1a4643, v10, -v24
	v_add_f32_e32 v22, v28, v22
	v_fmamk_f32 v24, v10, 0x3ee437d1, v30
	v_fma_f32 v27, 0x3ee437d1, v10, -v30
	v_mul_f32_e32 v28, 0xbf763a35, v9
	v_mul_f32_e32 v9, 0x3f7ee86f, v9
	v_add_f32_e32 v20, v23, v20
	v_add_f32_e32 v23, v29, v24
	;; [unrolled: 1-line block ×3, first 2 shown]
	v_fmamk_f32 v26, v10, 0xbe8c1d8e, v28
	v_fma_f32 v27, 0xbe8c1d8e, v10, -v28
	v_fmamk_f32 v28, v10, 0x3dbcf732, v9
	v_fma_f32 v9, 0x3dbcf732, v10, -v9
	v_lshl_add_u32 v10, v3, 6, v0
	v_add_f32_e32 v11, v11, v26
	v_add_f32_e32 v8, v8, v27
	;; [unrolled: 1-line block ×4, first 2 shown]
	ds_write2_b32 v10, v4, v17 offset1:1
	ds_write2_b32 v10, v13, v16 offset0:2 offset1:3
	ds_write2_b32 v10, v21, v22 offset0:4 offset1:5
	;; [unrolled: 1-line block ×7, first 2 shown]
	ds_write_b32 v10, v12 offset:64
.LBB0_15:
	s_or_b32 exec_lo, exec_lo, s1
	v_and_b32_e32 v4, 0xff, v3
	v_add_nc_u32_e32 v19, 0x99, v3
	v_mov_b32_e32 v8, 0xf0f1
	v_add_nc_u32_e32 v20, 0x132, v3
	v_mov_b32_e32 v57, 4
	v_mul_lo_u16 v7, 0xf1, v4
	s_load_dwordx2 s[4:5], s[4:5], 0x0
	v_mul_u32_u24_sdwa v9, v19, v8 dst_sel:DWORD dst_unused:UNUSED_PAD src0_sel:WORD_0 src1_sel:DWORD
	v_mul_u32_u24_sdwa v10, v20, v8 dst_sel:DWORD dst_unused:UNUSED_PAD src0_sel:WORD_0 src1_sel:DWORD
	s_waitcnt lgkmcnt(0)
	v_lshrrev_b16 v18, 12, v7
	v_add_nc_u32_e32 v7, 0x1cb, v3
	v_lshrrev_b32_e32 v40, 20, v9
	v_lshrrev_b32_e32 v58, 20, v10
	s_barrier
	v_mul_lo_u16 v9, v18, 17
	v_mul_u32_u24_sdwa v8, v7, v8 dst_sel:DWORD dst_unused:UNUSED_PAD src0_sel:WORD_0 src1_sel:DWORD
	v_mul_lo_u16 v10, v40, 17
	buffer_gl0_inv
	v_mov_b32_e32 v65, 0xcc
	v_sub_nc_u16 v59, v3, v9
	v_lshrrev_b32_e32 v60, 20, v8
	v_mul_lo_u16 v8, v58, 17
	v_sub_nc_u16 v61, v19, v10
	v_mul_lo_u16 v4, 0xa1, v4
	v_lshlrev_b32_sdwa v9, v57, v59 dst_sel:DWORD dst_unused:UNUSED_PAD src0_sel:DWORD src1_sel:BYTE_0
	v_mul_lo_u16 v12, v60, 17
	v_sub_nc_u16 v62, v20, v8
	v_lshlrev_b32_sdwa v13, v57, v61 dst_sel:DWORD dst_unused:UNUSED_PAD src0_sel:DWORD src1_sel:WORD_0
	v_mov_b32_e32 v68, 2
	global_load_dwordx4 v[8:11], v9, s[12:13]
	v_sub_nc_u16 v63, v7, v12
	v_lshlrev_b32_sdwa v16, v57, v62 dst_sel:DWORD dst_unused:UNUSED_PAD src0_sel:DWORD src1_sel:WORD_0
	global_load_dwordx4 v[12:15], v13, s[12:13]
	v_lshrrev_b16 v69, 13, v4
	v_mul_u32_u24_sdwa v4, v18, v65 dst_sel:DWORD dst_unused:UNUSED_PAD src0_sel:WORD_0 src1_sel:DWORD
	v_lshlrev_b32_sdwa v17, v57, v63 dst_sel:DWORD dst_unused:UNUSED_PAD src0_sel:DWORD src1_sel:WORD_0
	v_mul_u32_u24_e32 v18, 0xcc, v40
	v_mul_u32_u24_e32 v40, 0xcc, v58
	s_clause 0x1
	global_load_dwordx4 v[21:24], v16, s[12:13]
	global_load_dwordx4 v[26:29], v17, s[12:13]
	ds_read2_b32 v[16:17], v0 offset1:153
	ds_read2_b32 v[30:31], v53 offset0:100 offset1:253
	ds_read2_b32 v[32:33], v54 offset0:72 offset1:225
	;; [unrolled: 1-line block ×5, first 2 shown]
	v_lshlrev_b32_sdwa v59, v68, v59 dst_sel:DWORD dst_unused:UNUSED_PAD src0_sel:DWORD src1_sel:BYTE_0
	v_lshlrev_b32_sdwa v61, v68, v61 dst_sel:DWORD dst_unused:UNUSED_PAD src0_sel:DWORD src1_sel:WORD_0
	v_lshlrev_b32_sdwa v62, v68, v62 dst_sel:DWORD dst_unused:UNUSED_PAD src0_sel:DWORD src1_sel:WORD_0
	v_mul_u32_u24_e32 v60, 0xcc, v60
	v_lshlrev_b32_sdwa v63, v68, v63 dst_sel:DWORD dst_unused:UNUSED_PAD src0_sel:DWORD src1_sel:WORD_0
	v_add3_u32 v4, 0, v4, v59
	v_add3_u32 v18, 0, v18, v61
	;; [unrolled: 1-line block ×3, first 2 shown]
	v_mov_b32_e32 v64, 0xa0a1
	v_add3_u32 v60, 0, v60, v63
	v_mul_lo_u16 v58, v69, 51
	s_waitcnt vmcnt(0) lgkmcnt(0)
	s_barrier
	v_mul_u32_u24_sdwa v66, v19, v64 dst_sel:DWORD dst_unused:UNUSED_PAD src0_sel:WORD_0 src1_sel:DWORD
	v_mul_u32_u24_sdwa v67, v20, v64 dst_sel:DWORD dst_unused:UNUSED_PAD src0_sel:WORD_0 src1_sel:DWORD
	v_mul_u32_u24_sdwa v64, v7, v64 dst_sel:DWORD dst_unused:UNUSED_PAD src0_sel:WORD_0 src1_sel:DWORD
	v_sub_nc_u16 v58, v3, v58
	buffer_gl0_inv
	v_lshrrev_b32_e32 v66, 21, v66
	v_lshrrev_b32_e32 v67, 21, v67
	v_lshrrev_b32_e32 v64, 21, v64
	v_lshlrev_b32_sdwa v72, v57, v58 dst_sel:DWORD dst_unused:UNUSED_PAD src0_sel:DWORD src1_sel:BYTE_0
	v_mul_lo_u16 v65, v66, 51
	v_mul_lo_u16 v70, v67, 51
	;; [unrolled: 1-line block ×3, first 2 shown]
	v_sub_nc_u16 v65, v19, v65
	v_sub_nc_u16 v70, v20, v70
	v_lshlrev_b32_sdwa v73, v57, v65 dst_sel:DWORD dst_unused:UNUSED_PAD src0_sel:DWORD src1_sel:WORD_0
	v_mul_f32_e32 v40, v30, v9
	v_mul_f32_e32 v9, v51, v9
	;; [unrolled: 1-line block ×8, first 2 shown]
	v_fma_f32 v40, v51, v8, -v40
	v_mul_f32_e32 v74, v36, v22
	v_mul_f32_e32 v22, v47, v22
	;; [unrolled: 1-line block ×8, first 2 shown]
	v_fmac_f32_e32 v9, v30, v8
	v_fma_f32 v8, v49, v10, -v61
	v_fmac_f32_e32 v11, v32, v10
	v_fma_f32 v10, v52, v12, -v62
	v_fmac_f32_e32 v13, v31, v12
	v_fma_f32 v12, v50, v14, -v63
	v_fmac_f32_e32 v15, v33, v14
	v_fma_f32 v14, v47, v21, -v74
	v_fmac_f32_e32 v22, v36, v21
	v_fma_f32 v21, v45, v23, -v75
	v_fmac_f32_e32 v24, v38, v23
	v_fma_f32 v23, v48, v26, -v76
	v_fmac_f32_e32 v27, v37, v26
	v_fma_f32 v26, v46, v28, -v77
	v_fmac_f32_e32 v29, v39, v28
	v_add_f32_e32 v28, v41, v40
	v_add_f32_e32 v30, v40, v8
	v_sub_f32_e32 v31, v9, v11
	v_add_f32_e32 v32, v16, v9
	v_add_f32_e32 v9, v9, v11
	v_add_f32_e32 v37, v10, v12
	v_sub_f32_e32 v38, v13, v15
	v_add_f32_e32 v39, v17, v13
	v_add_f32_e32 v13, v13, v15
	v_sub_f32_e32 v33, v40, v8
	v_add_f32_e32 v40, v43, v14
	v_add_f32_e32 v45, v14, v21
	;; [unrolled: 3-line block ×3, first 2 shown]
	v_add_f32_e32 v49, v23, v26
	v_add_f32_e32 v48, v44, v23
	v_sub_f32_e32 v50, v27, v29
	v_add_f32_e32 v51, v35, v27
	v_add_f32_e32 v27, v27, v29
	;; [unrolled: 1-line block ×3, first 2 shown]
	v_fma_f32 v28, -0.5, v30, v41
	v_fma_f32 v9, -0.5, v9, v16
	v_add_f32_e32 v36, v42, v10
	v_sub_f32_e32 v10, v10, v12
	v_fmac_f32_e32 v42, -0.5, v37
	v_fmac_f32_e32 v17, -0.5, v13
	v_sub_f32_e32 v14, v14, v21
	v_add_f32_e32 v13, v40, v21
	v_fma_f32 v16, -0.5, v45, v43
	v_add_f32_e32 v21, v47, v24
	v_fma_f32 v24, -0.5, v22, v34
	v_fmac_f32_e32 v44, -0.5, v49
	v_sub_f32_e32 v23, v23, v26
	v_add_f32_e32 v11, v32, v11
	v_add_f32_e32 v22, v48, v26
	;; [unrolled: 1-line block ×3, first 2 shown]
	v_fmac_f32_e32 v35, -0.5, v27
	v_fmamk_f32 v27, v31, 0x3f5db3d7, v28
	v_fmamk_f32 v29, v33, 0xbf5db3d7, v9
	v_fmac_f32_e32 v28, 0xbf5db3d7, v31
	v_fmac_f32_e32 v9, 0x3f5db3d7, v33
	v_add_f32_e32 v12, v36, v12
	v_add_f32_e32 v15, v39, v15
	v_fmamk_f32 v30, v38, 0x3f5db3d7, v42
	v_fmamk_f32 v31, v10, 0xbf5db3d7, v17
	v_fmac_f32_e32 v42, 0xbf5db3d7, v38
	v_fmac_f32_e32 v17, 0x3f5db3d7, v10
	v_fmamk_f32 v10, v46, 0x3f5db3d7, v16
	v_fmamk_f32 v32, v14, 0xbf5db3d7, v24
	v_fmac_f32_e32 v24, 0x3f5db3d7, v14
	v_fmamk_f32 v14, v50, 0x3f5db3d7, v44
	v_fmac_f32_e32 v44, 0xbf5db3d7, v50
	v_fmac_f32_e32 v16, 0xbf5db3d7, v46
	v_fmamk_f32 v33, v23, 0xbf5db3d7, v35
	v_fmac_f32_e32 v35, 0x3f5db3d7, v23
	ds_write2_b32 v4, v8, v27 offset1:17
	ds_write_b32 v4, v28 offset:136
	ds_write2_b32 v18, v12, v30 offset1:17
	ds_write_b32 v18, v42 offset:136
	;; [unrolled: 2-line block ×4, first 2 shown]
	s_waitcnt lgkmcnt(0)
	s_barrier
	buffer_gl0_inv
	ds_read2_b32 v[22:23], v0 offset1:153
	ds_read2_b32 v[36:37], v53 offset0:100 offset1:253
	ds_read2_b32 v[38:39], v54 offset0:72 offset1:225
	;; [unrolled: 1-line block ×5, first 2 shown]
	s_waitcnt lgkmcnt(0)
	s_barrier
	buffer_gl0_inv
	ds_write2_b32 v4, v11, v29 offset1:17
	ds_write_b32 v4, v9 offset:136
	ds_write2_b32 v18, v15, v31 offset1:17
	ds_write_b32 v18, v17 offset:136
	;; [unrolled: 2-line block ×4, first 2 shown]
	v_sub_nc_u16 v18, v7, v71
	v_lshlrev_b32_sdwa v4, v57, v70 dst_sel:DWORD dst_unused:UNUSED_PAD src0_sel:DWORD src1_sel:WORD_0
	s_waitcnt lgkmcnt(0)
	s_barrier
	buffer_gl0_inv
	s_clause 0x1
	global_load_dwordx4 v[8:11], v72, s[12:13] offset:272
	global_load_dwordx4 v[12:15], v73, s[12:13] offset:272
	v_lshlrev_b32_sdwa v16, v57, v18 dst_sel:DWORD dst_unused:UNUSED_PAD src0_sel:DWORD src1_sel:WORD_0
	s_clause 0x1
	global_load_dwordx4 v[26:29], v4, s[12:13] offset:272
	global_load_dwordx4 v[30:33], v16, s[12:13] offset:272
	v_mov_b32_e32 v16, 0x358b
	v_add_nc_u32_e32 v21, 0x264, v3
	v_add_nc_u32_e32 v34, 0x2fd, v3
	v_mov_b32_e32 v4, 0
	v_mov_b32_e32 v24, 0x264
	v_mul_u32_u24_sdwa v35, v20, v16 dst_sel:DWORD dst_unused:UNUSED_PAD src0_sel:WORD_0 src1_sel:DWORD
	v_mul_u32_u24_sdwa v46, v7, v16 dst_sel:DWORD dst_unused:UNUSED_PAD src0_sel:WORD_0 src1_sel:DWORD
	;; [unrolled: 1-line block ×4, first 2 shown]
	v_lshlrev_b64 v[16:17], 3, v[3:4]
	v_lshrrev_b32_e32 v4, 21, v35
	v_lshrrev_b32_e32 v35, 21, v46
	;; [unrolled: 1-line block ×4, first 2 shown]
	v_mul_u32_u24_sdwa v24, v69, v24 dst_sel:DWORD dst_unused:UNUSED_PAD src0_sel:WORD_0 src1_sel:DWORD
	v_lshlrev_b32_sdwa v50, v68, v58 dst_sel:DWORD dst_unused:UNUSED_PAD src0_sel:DWORD src1_sel:BYTE_0
	v_mul_lo_u16 v35, 0x99, v35
	v_mul_lo_u16 v46, 0x99, v46
	;; [unrolled: 1-line block ×3, first 2 shown]
	v_mul_u32_u24_e32 v52, 0x264, v66
	v_add3_u32 v24, 0, v24, v50
	v_sub_nc_u16 v7, v7, v35
	v_sub_nc_u16 v48, v21, v46
	;; [unrolled: 1-line block ×3, first 2 shown]
	ds_read2_b32 v[34:35], v53 offset0:100 offset1:253
	ds_read2_b32 v[46:47], v54 offset0:72 offset1:225
	;; [unrolled: 1-line block ×3, first 2 shown]
	v_and_b32_e32 v62, 0xffff, v48
	v_and_b32_e32 v63, 0xffff, v49
	ds_read2_b32 v[48:49], v55 offset0:22 offset1:175
	v_mul_u32_u24_e32 v57, 0x264, v67
	v_mul_u32_u24_e32 v59, 0x264, v64
	v_lshlrev_b32_sdwa v58, v68, v65 dst_sel:DWORD dst_unused:UNUSED_PAD src0_sel:DWORD src1_sel:WORD_0
	v_lshlrev_b32_sdwa v60, v68, v70 dst_sel:DWORD dst_unused:UNUSED_PAD src0_sel:DWORD src1_sel:WORD_0
	v_lshlrev_b32_sdwa v18, v68, v18 dst_sel:DWORD dst_unused:UNUSED_PAD src0_sel:DWORD src1_sel:WORD_0
	v_and_b32_e32 v61, 0xffff, v7
	v_mul_lo_u16 v4, 0x99, v4
	v_add3_u32 v52, 0, v52, v58
	v_add3_u32 v64, 0, v57, v60
	;; [unrolled: 1-line block ×3, first 2 shown]
	ds_read2_b32 v[57:58], v0 offset1:153
	ds_read2_b32 v[59:60], v25 offset0:50 offset1:203
	v_sub_nc_u16 v4, v20, v4
	v_add_co_u32 v16, s0, s12, v16
	v_add_co_ci_u32_e64 v17, s0, s13, v17, s0
	v_and_b32_e32 v4, 0xffff, v4
	s_waitcnt vmcnt(0) lgkmcnt(0)
	s_barrier
	buffer_gl0_inv
	v_lshlrev_b32_e32 v65, 3, v4
	v_lshl_add_u32 v4, v4, 2, 0
	v_add_nc_u32_e32 v4, 0x800, v4
	v_mul_f32_e32 v7, v34, v9
	v_mul_f32_e32 v9, v36, v9
	;; [unrolled: 1-line block ×16, first 2 shown]
	v_fma_f32 v7, v36, v8, -v7
	v_fmac_f32_e32 v9, v34, v8
	v_fma_f32 v8, v38, v10, -v66
	v_fmac_f32_e32 v11, v46, v10
	;; [unrolled: 2-line block ×8, first 2 shown]
	v_add_f32_e32 v34, v7, v8
	v_sub_f32_e32 v35, v9, v11
	v_add_f32_e32 v36, v57, v9
	v_add_f32_e32 v9, v9, v11
	;; [unrolled: 1-line block ×3, first 2 shown]
	v_sub_f32_e32 v39, v13, v15
	v_add_f32_e32 v42, v58, v13
	v_add_f32_e32 v13, v13, v15
	;; [unrolled: 1-line block ×5, first 2 shown]
	v_sub_f32_e32 v45, v27, v29
	v_add_f32_e32 v46, v59, v27
	v_add_f32_e32 v27, v27, v29
	;; [unrolled: 1-line block ×3, first 2 shown]
	v_sub_f32_e32 v7, v7, v8
	v_add_f32_e32 v43, v40, v14
	v_sub_f32_e32 v49, v31, v33
	v_add_f32_e32 v50, v60, v31
	v_add_f32_e32 v31, v31, v33
	v_fma_f32 v22, -0.5, v34, v22
	v_fma_f32 v34, -0.5, v9, v57
	v_sub_f32_e32 v10, v10, v12
	v_add_f32_e32 v47, v41, v28
	v_fmac_f32_e32 v23, -0.5, v38
	v_fmac_f32_e32 v58, -0.5, v13
	v_sub_f32_e32 v14, v14, v26
	v_add_f32_e32 v8, v32, v8
	v_add_f32_e32 v32, v36, v11
	;; [unrolled: 1-line block ×3, first 2 shown]
	v_fma_f32 v12, -0.5, v44, v40
	v_fma_f32 v36, -0.5, v27, v59
	v_fmac_f32_e32 v41, -0.5, v48
	v_sub_f32_e32 v28, v28, v30
	v_add_f32_e32 v11, v43, v26
	v_fmac_f32_e32 v60, -0.5, v31
	v_fmamk_f32 v26, v35, 0x3f5db3d7, v22
	v_fmamk_f32 v31, v7, 0xbf5db3d7, v34
	v_fmac_f32_e32 v22, 0xbf5db3d7, v35
	v_fmac_f32_e32 v34, 0x3f5db3d7, v7
	v_add_f32_e32 v15, v42, v15
	v_add_f32_e32 v13, v47, v30
	;; [unrolled: 1-line block ×3, first 2 shown]
	v_fmamk_f32 v7, v39, 0x3f5db3d7, v23
	v_fmamk_f32 v33, v10, 0xbf5db3d7, v58
	v_fmac_f32_e32 v23, 0xbf5db3d7, v39
	v_fmac_f32_e32 v58, 0x3f5db3d7, v10
	v_add_f32_e32 v29, v46, v29
	v_fmamk_f32 v10, v45, 0x3f5db3d7, v12
	v_fmac_f32_e32 v12, 0xbf5db3d7, v45
	v_fmamk_f32 v35, v14, 0xbf5db3d7, v36
	v_fmac_f32_e32 v36, 0x3f5db3d7, v14
	;; [unrolled: 2-line block ×4, first 2 shown]
	ds_write2_b32 v24, v8, v26 offset1:51
	ds_write_b32 v24, v22 offset:408
	ds_write2_b32 v52, v9, v7 offset1:51
	ds_write_b32 v52, v23 offset:408
	;; [unrolled: 2-line block ×4, first 2 shown]
	s_waitcnt lgkmcnt(0)
	s_barrier
	buffer_gl0_inv
	ds_read2_b32 v[7:8], v0 offset1:153
	ds_read2_b32 v[9:10], v55 offset0:22 offset1:175
	ds_read2_b32 v[11:12], v25 offset0:50 offset1:203
	;; [unrolled: 1-line block ×5, first 2 shown]
	s_waitcnt lgkmcnt(0)
	s_barrier
	buffer_gl0_inv
	ds_write2_b32 v24, v32, v31 offset1:51
	ds_write_b32 v24, v34 offset:408
	ds_write2_b32 v52, v15, v33 offset1:51
	ds_write_b32 v52, v58 offset:408
	ds_write2_b32 v64, v29, v35 offset1:51
	ds_write_b32 v64, v36 offset:408
	ds_write2_b32 v18, v30, v37 offset1:51
	ds_write_b32 v18, v60 offset:408
	v_lshlrev_b32_e32 v24, 3, v61
	s_waitcnt lgkmcnt(0)
	s_barrier
	buffer_gl0_inv
	global_load_dwordx2 v[15:16], v[16:17], off offset:1088
	v_lshlrev_b32_e32 v30, 3, v62
	v_lshlrev_b32_e32 v32, 3, v63
	s_clause 0x3
	global_load_dwordx2 v[17:18], v65, s[12:13] offset:1088
	global_load_dwordx2 v[28:29], v24, s[12:13] offset:1088
	;; [unrolled: 1-line block ×4, first 2 shown]
	ds_read2_b32 v[34:35], v55 offset0:22 offset1:175
	ds_read2_b32 v[36:37], v54 offset0:72 offset1:225
	;; [unrolled: 1-line block ×3, first 2 shown]
	v_lshl_add_u32 v40, v62, 2, 0
	v_lshl_add_u32 v41, v63, 2, 0
	;; [unrolled: 1-line block ×3, first 2 shown]
	v_add_nc_u32_e32 v46, 0x1200, v40
	v_add_nc_u32_e32 v47, 0x1700, v41
	ds_read2_b32 v[40:41], v0 offset1:153
	ds_read2_b32 v[42:43], v25 offset0:50 offset1:203
	ds_read2_b32 v[44:45], v53 offset0:100 offset1:253
	v_add_nc_u32_e32 v24, 0xe00, v24
	s_waitcnt vmcnt(0) lgkmcnt(0)
	s_barrier
	buffer_gl0_inv
	v_mul_f32_e32 v48, v34, v16
	v_mul_f32_e32 v50, v35, v16
	;; [unrolled: 1-line block ×9, first 2 shown]
	v_fma_f32 v9, v9, v15, -v48
	v_fma_f32 v10, v10, v15, -v50
	;; [unrolled: 1-line block ×3, first 2 shown]
	v_mul_f32_e32 v29, v14, v29
	v_fma_f32 v14, v14, v28, -v52
	v_fmac_f32_e32 v49, v34, v15
	v_fmac_f32_e32 v16, v35, v15
	;; [unrolled: 1-line block ×3, first 2 shown]
	v_fma_f32 v15, v26, v30, -v57
	v_fma_f32 v17, v27, v32, -v58
	v_sub_f32_e32 v9, v7, v9
	v_sub_f32_e32 v10, v8, v10
	;; [unrolled: 1-line block ×4, first 2 shown]
	v_mul_f32_e32 v33, v27, v33
	v_sub_f32_e32 v27, v41, v16
	v_sub_f32_e32 v15, v22, v15
	v_sub_f32_e32 v16, v23, v17
	v_fma_f32 v7, v7, 2.0, -v9
	v_fma_f32 v8, v8, 2.0, -v10
	;; [unrolled: 1-line block ×4, first 2 shown]
	v_fmac_f32_e32 v29, v37, v28
	v_sub_f32_e32 v28, v42, v18
	v_fma_f32 v17, v22, 2.0, -v15
	v_fma_f32 v18, v23, 2.0, -v16
	ds_write2_b32 v0, v7, v9 offset1:153
	ds_write2_b32 v25, v8, v10 offset0:50 offset1:203
	ds_write2_b32 v4, v11, v13 offset0:100 offset1:253
	;; [unrolled: 1-line block ×5, first 2 shown]
	s_waitcnt lgkmcnt(0)
	s_barrier
	buffer_gl0_inv
	ds_read2_b32 v[7:8], v0 offset1:153
	ds_read2_b32 v[9:10], v25 offset0:50 offset1:203
	ds_read2_b32 v[15:16], v53 offset0:100 offset1:253
	;; [unrolled: 1-line block ×5, first 2 shown]
	v_mul_f32_e32 v31, v26, v31
	v_fmac_f32_e32 v33, v39, v32
	v_sub_f32_e32 v26, v40, v49
	v_sub_f32_e32 v29, v43, v29
	v_fma_f32 v32, v42, 2.0, -v28
	v_fmac_f32_e32 v31, v38, v30
	v_sub_f32_e32 v23, v45, v33
	v_fma_f32 v30, v40, 2.0, -v26
	v_fma_f32 v33, v43, 2.0, -v29
	s_waitcnt lgkmcnt(0)
	v_sub_f32_e32 v22, v44, v31
	v_fma_f32 v31, v41, 2.0, -v27
	v_fma_f32 v35, v45, 2.0, -v23
	s_barrier
	buffer_gl0_inv
	v_fma_f32 v34, v44, 2.0, -v22
	ds_write2_b32 v0, v30, v26 offset1:153
	ds_write2_b32 v25, v31, v27 offset0:50 offset1:203
	ds_write2_b32 v4, v32, v28 offset0:100 offset1:253
	;; [unrolled: 1-line block ×5, first 2 shown]
	s_waitcnt lgkmcnt(0)
	s_barrier
	buffer_gl0_inv
	s_and_saveexec_b32 s0, vcc_lo
	s_cbranch_execz .LBB0_17
; %bb.16:
	v_mul_u32_u24_e32 v4, 5, v19
	v_mul_u32_u24_e32 v22, 5, v3
	v_mul_lo_u32 v66, s5, v5
	v_mul_lo_u32 v6, s4, v6
	v_mad_u64_u32 v[44:45], null, s2, v3, 0
	v_lshlrev_b32_e32 v4, 3, v4
	v_lshlrev_b32_e32 v24, 3, v22
	v_mad_u64_u32 v[46:47], null, s2, v20, 0
	v_add_nc_u32_e32 v68, 0x396, v3
	v_add_co_u32 v4, s0, s12, v4
	v_add_co_ci_u32_e64 v23, null, s13, 0, s0
	v_mad_u64_u32 v[48:49], null, s2, v21, 0
	v_add_co_u32 v30, vcc_lo, 0x908, v4
	v_add_co_ci_u32_e32 v31, vcc_lo, 0, v23, vcc_lo
	v_add_co_u32 v22, vcc_lo, 0x800, v4
	v_add_co_ci_u32_e32 v23, vcc_lo, 0, v23, vcc_lo
	v_add_co_u32 v4, s0, s12, v24
	s_clause 0x1
	global_load_dwordx4 v[22:25], v[22:23], off offset:264
	global_load_dwordx4 v[26:29], v[30:31], off offset:16
	v_add_co_ci_u32_e64 v34, null, s13, 0, s0
	v_add_co_u32 v32, vcc_lo, 0x800, v4
	v_add_nc_u32_e32 v69, 0x4c8, v3
	v_add_co_ci_u32_e32 v33, vcc_lo, 0, v34, vcc_lo
	v_add_co_u32 v38, vcc_lo, 0x908, v4
	v_add_co_ci_u32_e32 v39, vcc_lo, 0, v34, vcc_lo
	s_clause 0x3
	global_load_dwordx2 v[40:41], v[30:31], off offset:32
	global_load_dwordx4 v[30:33], v[32:33], off offset:264
	global_load_dwordx4 v[34:37], v[38:39], off offset:16
	global_load_dwordx2 v[38:39], v[38:39], off offset:32
	v_mad_u64_u32 v[4:5], null, s4, v5, 0
	v_add_nc_u32_e32 v70, 0x5fa, v3
	v_add_nc_u32_e32 v56, 0x800, v0
	v_mul_hi_u32 v67, 0xd62b80d7, v19
	v_add_nc_u32_e32 v58, 0x1200, v0
	v_add_nc_u32_e32 v60, 0x400, v0
	v_mad_u64_u32 v[50:51], null, s2, v68, 0
	v_add_nc_u32_e32 v62, 0xe00, v0
	v_mad_u64_u32 v[52:53], null, s2, v69, 0
	ds_read2_b32 v[42:43], v0 offset1:153
	v_lshlrev_b64 v[1:2], 3, v[1:2]
	v_add_nc_u32_e32 v0, 0x1700, v0
	v_mad_u64_u32 v[54:55], null, s2, v70, 0
	ds_read2_b32 v[56:57], v56 offset0:100 offset1:253
	ds_read2_b32 v[58:59], v58 offset0:72 offset1:225
	;; [unrolled: 1-line block ×5, first 2 shown]
	v_add3_u32 v5, v5, v6, v66
	v_mov_b32_e32 v0, v45
	v_mov_b32_e32 v6, v47
	;; [unrolled: 1-line block ×3, first 2 shown]
	v_lshrrev_b32_e32 v47, 8, v67
	v_mad_u64_u32 v[66:67], null, s3, v3, v[0:1]
	v_lshlrev_b64 v[3:4], 3, v[4:5]
	v_mad_u64_u32 v[5:6], null, s3, v20, v[6:7]
	v_mov_b32_e32 v0, v51
	v_mad_u64_u32 v[20:21], null, s3, v21, v[45:46]
	v_mov_b32_e32 v6, v53
	v_mov_b32_e32 v21, v55
	v_mad_u32_u24 v76, 0x5fa, v47, v19
	v_mad_u64_u32 v[67:68], null, s3, v68, v[0:1]
	v_mad_u64_u32 v[68:69], null, s3, v69, v[6:7]
	v_add_nc_u32_e32 v77, 0x132, v76
	v_add_nc_u32_e32 v78, 0x264, v76
	;; [unrolled: 1-line block ×5, first 2 shown]
	v_add_co_u32 v0, vcc_lo, s10, v3
	v_mov_b32_e32 v45, v66
	v_mov_b32_e32 v47, v5
	;; [unrolled: 1-line block ×3, first 2 shown]
	v_mad_u64_u32 v[5:6], null, s2, v78, 0
	v_mad_u64_u32 v[19:20], null, s2, v79, 0
	v_mad_u64_u32 v[72:73], null, s2, v80, 0
	v_mad_u64_u32 v[74:75], null, s2, v81, 0
	v_mov_b32_e32 v51, v67
	v_mov_b32_e32 v53, v68
	s_waitcnt vmcnt(5)
	v_mad_u64_u32 v[69:70], null, s3, v70, v[21:22]
	v_mad_u64_u32 v[70:71], null, s2, v76, 0
	v_add_co_ci_u32_e32 v21, vcc_lo, s11, v4, vcc_lo
	v_mad_u64_u32 v[3:4], null, s2, v77, 0
	v_add_co_u32 v82, vcc_lo, v0, v1
	v_add_co_ci_u32_e32 v83, vcc_lo, v21, v2, vcc_lo
	v_mov_b32_e32 v2, v71
	v_lshlrev_b64 v[0:1], 3, v[44:45]
	v_lshlrev_b64 v[44:45], 3, v[46:47]
	;; [unrolled: 1-line block ×5, first 2 shown]
	v_mad_u64_u32 v[52:53], null, s3, v76, v[2:3]
	v_mov_b32_e32 v2, v4
	v_mov_b32_e32 v4, v6
	;; [unrolled: 1-line block ×5, first 2 shown]
	v_add_co_u32 v0, vcc_lo, v82, v0
	v_add_co_ci_u32_e32 v1, vcc_lo, v83, v1, vcc_lo
	v_add_co_u32 v44, vcc_lo, v82, v44
	v_mad_u64_u32 v[66:67], null, s3, v77, v[2:3]
	v_mov_b32_e32 v55, v69
	v_mad_u64_u32 v[67:68], null, s3, v78, v[4:5]
	v_mad_u64_u32 v[75:76], null, s3, v80, v[20:21]
	v_add_co_ci_u32_e32 v45, vcc_lo, v83, v45, vcc_lo
	v_add_co_u32 v46, vcc_lo, v82, v46
	v_add_co_ci_u32_e32 v47, vcc_lo, v83, v47, vcc_lo
	v_lshlrev_b64 v[53:54], 3, v[54:55]
	v_mad_u64_u32 v[76:77], null, s3, v81, v[21:22]
	v_add_co_u32 v48, vcc_lo, v82, v48
	v_add_co_ci_u32_e32 v49, vcc_lo, v83, v49, vcc_lo
	v_mad_u64_u32 v[68:69], null, s3, v79, v[6:7]
	v_add_co_u32 v50, vcc_lo, v82, v50
	v_mov_b32_e32 v71, v52
	v_mov_b32_e32 v4, v66
	;; [unrolled: 1-line block ×4, first 2 shown]
	v_add_co_ci_u32_e32 v51, vcc_lo, v83, v51, vcc_lo
	v_add_co_u32 v52, vcc_lo, v82, v53
	v_add_co_ci_u32_e32 v53, vcc_lo, v83, v54, vcc_lo
	v_lshlrev_b64 v[54:55], 3, v[70:71]
	v_mov_b32_e32 v75, v76
	v_lshlrev_b64 v[2:3], 3, v[3:4]
	v_lshlrev_b64 v[4:5], 3, v[5:6]
	;; [unrolled: 1-line block ×3, first 2 shown]
	s_waitcnt lgkmcnt(4)
	v_mul_f32_e32 v6, v57, v25
	s_waitcnt vmcnt(4) lgkmcnt(3)
	v_mul_f32_e32 v21, v59, v29
	v_mul_f32_e32 v25, v16, v25
	;; [unrolled: 1-line block ×3, first 2 shown]
	s_waitcnt lgkmcnt(2)
	v_mul_f32_e32 v70, v61, v23
	s_waitcnt lgkmcnt(1)
	v_mul_f32_e32 v71, v63, v27
	v_mul_f32_e32 v27, v12, v27
	s_waitcnt vmcnt(3) lgkmcnt(0)
	v_mul_f32_e32 v72, v65, v41
	v_mul_f32_e32 v41, v14, v41
	s_waitcnt vmcnt(1)
	v_mul_f32_e32 v76, v62, v35
	s_waitcnt vmcnt(0)
	v_mul_f32_e32 v77, v64, v39
	v_mul_f32_e32 v35, v11, v35
	v_mul_f32_e32 v39, v13, v39
	v_mov_b32_e32 v20, v68
	v_lshlrev_b64 v[68:69], 3, v[74:75]
	v_mul_f32_e32 v23, v10, v23
	v_mul_f32_e32 v73, v56, v33
	;; [unrolled: 1-line block ×7, first 2 shown]
	v_fmac_f32_e32 v29, v28, v59
	v_fma_f32 v12, v12, v26, -v71
	v_fmac_f32_e32 v27, v26, v63
	v_fmac_f32_e32 v25, v24, v57
	v_fma_f32 v10, v10, v22, -v70
	v_fma_f32 v14, v14, v40, -v72
	v_fmac_f32_e32 v41, v40, v65
	v_fma_f32 v11, v11, v34, -v76
	v_fma_f32 v13, v13, v38, -v77
	v_fmac_f32_e32 v35, v34, v62
	v_fmac_f32_e32 v39, v38, v64
	v_fma_f32 v18, v18, v28, -v21
	v_fma_f32 v6, v16, v24, -v6
	v_fmac_f32_e32 v23, v22, v61
	v_fma_f32 v15, v15, v32, -v73
	v_fma_f32 v16, v17, v36, -v74
	v_fmac_f32_e32 v33, v32, v56
	v_fmac_f32_e32 v37, v36, v58
	v_fma_f32 v9, v9, v30, -v75
	v_fmac_f32_e32 v31, v30, v60
	v_add_f32_e32 v21, v25, v29
	v_add_f32_e32 v22, v12, v14
	v_sub_f32_e32 v26, v12, v14
	v_add_f32_e32 v28, v27, v41
	v_add_f32_e32 v30, v25, v43
	;; [unrolled: 1-line block ×5, first 2 shown]
	v_sub_f32_e32 v17, v6, v18
	v_sub_f32_e32 v24, v27, v41
	v_add_f32_e32 v27, v23, v27
	v_add_f32_e32 v32, v6, v18
	v_sub_f32_e32 v25, v25, v29
	v_add_f32_e32 v6, v8, v6
	v_add_f32_e32 v36, v33, v37
	v_sub_f32_e32 v40, v35, v39
	v_sub_f32_e32 v56, v11, v13
	v_add_f32_e32 v58, v33, v42
	v_add_f32_e32 v35, v31, v35
	;; [unrolled: 1-line block ×3, first 2 shown]
	v_fma_f32 v21, -0.5, v21, v43
	v_fma_f32 v22, -0.5, v22, v10
	;; [unrolled: 1-line block ×3, first 2 shown]
	v_add_f32_e32 v10, v29, v30
	v_add_f32_e32 v12, v12, v14
	v_fma_f32 v14, -0.5, v38, v9
	v_fma_f32 v29, -0.5, v57, v31
	v_sub_f32_e32 v34, v15, v16
	v_add_f32_e32 v15, v7, v15
	v_add_f32_e32 v11, v9, v11
	v_sub_f32_e32 v33, v33, v37
	v_add_f32_e32 v27, v27, v41
	v_fma_f32 v28, -0.5, v32, v8
	v_add_f32_e32 v8, v6, v18
	v_fma_f32 v18, -0.5, v36, v42
	v_add_f32_e32 v30, v37, v58
	v_add_f32_e32 v31, v35, v39
	v_fma_f32 v32, -0.5, v59, v7
	v_fmamk_f32 v35, v17, 0x3f5db3d7, v21
	v_fmamk_f32 v36, v24, 0xbf5db3d7, v22
	;; [unrolled: 1-line block ×3, first 2 shown]
	v_fmac_f32_e32 v21, 0xbf5db3d7, v17
	v_fmac_f32_e32 v23, 0xbf5db3d7, v26
	v_fmamk_f32 v17, v40, 0xbf5db3d7, v14
	v_fmamk_f32 v26, v56, 0x3f5db3d7, v29
	v_fmac_f32_e32 v29, 0xbf5db3d7, v56
	v_fmac_f32_e32 v14, 0x3f5db3d7, v40
	v_add_co_u32 v54, vcc_lo, v82, v54
	v_add_f32_e32 v15, v15, v16
	v_add_f32_e32 v16, v11, v13
	v_fmac_f32_e32 v22, 0x3f5db3d7, v24
	v_add_co_ci_u32_e32 v55, vcc_lo, v83, v55, vcc_lo
	v_sub_f32_e32 v7, v10, v27
	v_fmamk_f32 v24, v25, 0xbf5db3d7, v28
	v_fmac_f32_e32 v28, 0x3f5db3d7, v25
	v_add_f32_e32 v9, v10, v27
	v_fmamk_f32 v25, v34, 0x3f5db3d7, v18
	v_fmac_f32_e32 v18, 0xbf5db3d7, v34
	v_sub_f32_e32 v11, v30, v31
	v_fmamk_f32 v34, v33, 0xbf5db3d7, v32
	v_fmac_f32_e32 v32, 0x3f5db3d7, v33
	v_add_f32_e32 v13, v30, v31
	v_mul_f32_e32 v27, -0.5, v36
	v_mul_f32_e32 v31, -0.5, v26
	v_mul_f32_e32 v33, 0xbf5db3d7, v14
	v_mul_f32_e32 v39, 0x3f5db3d7, v29
	v_lshlrev_b64 v[19:20], 3, v[19:20]
	v_add_co_u32 v2, vcc_lo, v82, v2
	v_mul_f32_e32 v38, -0.5, v17
	v_add_co_ci_u32_e32 v3, vcc_lo, v83, v3, vcc_lo
	v_sub_f32_e32 v6, v8, v12
	v_add_f32_e32 v8, v8, v12
	v_sub_f32_e32 v10, v15, v16
	v_add_f32_e32 v12, v15, v16
	v_mul_f32_e32 v16, 0xbf5db3d7, v22
	v_mul_f32_e32 v30, 0x3f5db3d7, v23
	v_add_co_u32 v4, vcc_lo, v82, v4
	v_mul_f32_e32 v15, -0.5, v37
	v_fmac_f32_e32 v27, 0x3f5db3d7, v37
	v_fmac_f32_e32 v31, 0xbf5db3d7, v17
	v_fmac_f32_e32 v33, 0.5, v29
	v_fmac_f32_e32 v39, 0.5, v14
	v_add_co_ci_u32_e32 v5, vcc_lo, v83, v5, vcc_lo
	v_fmac_f32_e32 v38, 0x3f5db3d7, v26
	v_add_co_u32 v19, vcc_lo, v82, v19
	v_fmac_f32_e32 v16, 0.5, v23
	v_fmac_f32_e32 v30, 0.5, v22
	v_add_co_ci_u32_e32 v20, vcc_lo, v83, v20, vcc_lo
	v_add_co_u32 v66, vcc_lo, v82, v66
	global_store_dwordx2 v[0:1], v[12:13], off
	v_fmac_f32_e32 v15, 0xbf5db3d7, v36
	v_sub_f32_e32 v0, v24, v27
	v_add_f32_e32 v14, v24, v27
	v_sub_f32_e32 v22, v25, v31
	v_add_f32_e32 v24, v25, v31
	v_add_f32_e32 v26, v18, v33
	;; [unrolled: 1-line block ×4, first 2 shown]
	v_add_co_ci_u32_e32 v67, vcc_lo, v83, v67, vcc_lo
	v_add_co_u32 v68, vcc_lo, v82, v68
	v_sub_f32_e32 v13, v21, v16
	v_sub_f32_e32 v12, v28, v30
	v_add_f32_e32 v17, v21, v16
	v_add_f32_e32 v16, v28, v30
	v_sub_f32_e32 v28, v18, v33
	v_sub_f32_e32 v27, v32, v39
	;; [unrolled: 1-line block ×3, first 2 shown]
	v_add_co_ci_u32_e32 v69, vcc_lo, v83, v69, vcc_lo
	v_sub_f32_e32 v1, v35, v15
	v_add_f32_e32 v15, v35, v15
	global_store_dwordx2 v[44:45], v[25:26], off
	global_store_dwordx2 v[46:47], v[23:24], off
	global_store_dwordx2 v[48:49], v[10:11], off
	global_store_dwordx2 v[50:51], v[27:28], off
	global_store_dwordx2 v[52:53], v[21:22], off
	global_store_dwordx2 v[54:55], v[8:9], off
	global_store_dwordx2 v[2:3], v[16:17], off
	global_store_dwordx2 v[4:5], v[14:15], off
	global_store_dwordx2 v[19:20], v[6:7], off
	global_store_dwordx2 v[66:67], v[12:13], off
	global_store_dwordx2 v[68:69], v[0:1], off
.LBB0_17:
	s_endpgm
	.section	.rodata,"a",@progbits
	.p2align	6, 0x0
	.amdhsa_kernel fft_rtc_fwd_len1836_factors_17_3_3_2_6_wgs_153_tpt_153_halfLds_sp_op_CI_CI_sbrr_dirReg
		.amdhsa_group_segment_fixed_size 0
		.amdhsa_private_segment_fixed_size 0
		.amdhsa_kernarg_size 104
		.amdhsa_user_sgpr_count 6
		.amdhsa_user_sgpr_private_segment_buffer 1
		.amdhsa_user_sgpr_dispatch_ptr 0
		.amdhsa_user_sgpr_queue_ptr 0
		.amdhsa_user_sgpr_kernarg_segment_ptr 1
		.amdhsa_user_sgpr_dispatch_id 0
		.amdhsa_user_sgpr_flat_scratch_init 0
		.amdhsa_user_sgpr_private_segment_size 0
		.amdhsa_wavefront_size32 1
		.amdhsa_uses_dynamic_stack 0
		.amdhsa_system_sgpr_private_segment_wavefront_offset 0
		.amdhsa_system_sgpr_workgroup_id_x 1
		.amdhsa_system_sgpr_workgroup_id_y 0
		.amdhsa_system_sgpr_workgroup_id_z 0
		.amdhsa_system_sgpr_workgroup_info 0
		.amdhsa_system_vgpr_workitem_id 0
		.amdhsa_next_free_vgpr 84
		.amdhsa_next_free_sgpr 31
		.amdhsa_reserve_vcc 1
		.amdhsa_reserve_flat_scratch 0
		.amdhsa_float_round_mode_32 0
		.amdhsa_float_round_mode_16_64 0
		.amdhsa_float_denorm_mode_32 3
		.amdhsa_float_denorm_mode_16_64 3
		.amdhsa_dx10_clamp 1
		.amdhsa_ieee_mode 1
		.amdhsa_fp16_overflow 0
		.amdhsa_workgroup_processor_mode 1
		.amdhsa_memory_ordered 1
		.amdhsa_forward_progress 0
		.amdhsa_shared_vgpr_count 0
		.amdhsa_exception_fp_ieee_invalid_op 0
		.amdhsa_exception_fp_denorm_src 0
		.amdhsa_exception_fp_ieee_div_zero 0
		.amdhsa_exception_fp_ieee_overflow 0
		.amdhsa_exception_fp_ieee_underflow 0
		.amdhsa_exception_fp_ieee_inexact 0
		.amdhsa_exception_int_div_zero 0
	.end_amdhsa_kernel
	.text
.Lfunc_end0:
	.size	fft_rtc_fwd_len1836_factors_17_3_3_2_6_wgs_153_tpt_153_halfLds_sp_op_CI_CI_sbrr_dirReg, .Lfunc_end0-fft_rtc_fwd_len1836_factors_17_3_3_2_6_wgs_153_tpt_153_halfLds_sp_op_CI_CI_sbrr_dirReg
                                        ; -- End function
	.section	.AMDGPU.csdata,"",@progbits
; Kernel info:
; codeLenInByte = 12424
; NumSgprs: 33
; NumVgprs: 84
; ScratchSize: 0
; MemoryBound: 0
; FloatMode: 240
; IeeeMode: 1
; LDSByteSize: 0 bytes/workgroup (compile time only)
; SGPRBlocks: 4
; VGPRBlocks: 10
; NumSGPRsForWavesPerEU: 33
; NumVGPRsForWavesPerEU: 84
; Occupancy: 10
; WaveLimiterHint : 1
; COMPUTE_PGM_RSRC2:SCRATCH_EN: 0
; COMPUTE_PGM_RSRC2:USER_SGPR: 6
; COMPUTE_PGM_RSRC2:TRAP_HANDLER: 0
; COMPUTE_PGM_RSRC2:TGID_X_EN: 1
; COMPUTE_PGM_RSRC2:TGID_Y_EN: 0
; COMPUTE_PGM_RSRC2:TGID_Z_EN: 0
; COMPUTE_PGM_RSRC2:TIDIG_COMP_CNT: 0
	.text
	.p2alignl 6, 3214868480
	.fill 48, 4, 3214868480
	.type	__hip_cuid_2de67a01a42bfd96,@object ; @__hip_cuid_2de67a01a42bfd96
	.section	.bss,"aw",@nobits
	.globl	__hip_cuid_2de67a01a42bfd96
__hip_cuid_2de67a01a42bfd96:
	.byte	0                               ; 0x0
	.size	__hip_cuid_2de67a01a42bfd96, 1

	.ident	"AMD clang version 19.0.0git (https://github.com/RadeonOpenCompute/llvm-project roc-6.4.0 25133 c7fe45cf4b819c5991fe208aaa96edf142730f1d)"
	.section	".note.GNU-stack","",@progbits
	.addrsig
	.addrsig_sym __hip_cuid_2de67a01a42bfd96
	.amdgpu_metadata
---
amdhsa.kernels:
  - .args:
      - .actual_access:  read_only
        .address_space:  global
        .offset:         0
        .size:           8
        .value_kind:     global_buffer
      - .offset:         8
        .size:           8
        .value_kind:     by_value
      - .actual_access:  read_only
        .address_space:  global
        .offset:         16
        .size:           8
        .value_kind:     global_buffer
      - .actual_access:  read_only
        .address_space:  global
        .offset:         24
        .size:           8
        .value_kind:     global_buffer
      - .actual_access:  read_only
        .address_space:  global
        .offset:         32
        .size:           8
        .value_kind:     global_buffer
      - .offset:         40
        .size:           8
        .value_kind:     by_value
      - .actual_access:  read_only
        .address_space:  global
        .offset:         48
        .size:           8
        .value_kind:     global_buffer
      - .actual_access:  read_only
        .address_space:  global
        .offset:         56
        .size:           8
        .value_kind:     global_buffer
      - .offset:         64
        .size:           4
        .value_kind:     by_value
      - .actual_access:  read_only
        .address_space:  global
        .offset:         72
        .size:           8
        .value_kind:     global_buffer
      - .actual_access:  read_only
        .address_space:  global
        .offset:         80
        .size:           8
        .value_kind:     global_buffer
      - .actual_access:  read_only
        .address_space:  global
        .offset:         88
        .size:           8
        .value_kind:     global_buffer
      - .actual_access:  write_only
        .address_space:  global
        .offset:         96
        .size:           8
        .value_kind:     global_buffer
    .group_segment_fixed_size: 0
    .kernarg_segment_align: 8
    .kernarg_segment_size: 104
    .language:       OpenCL C
    .language_version:
      - 2
      - 0
    .max_flat_workgroup_size: 153
    .name:           fft_rtc_fwd_len1836_factors_17_3_3_2_6_wgs_153_tpt_153_halfLds_sp_op_CI_CI_sbrr_dirReg
    .private_segment_fixed_size: 0
    .sgpr_count:     33
    .sgpr_spill_count: 0
    .symbol:         fft_rtc_fwd_len1836_factors_17_3_3_2_6_wgs_153_tpt_153_halfLds_sp_op_CI_CI_sbrr_dirReg.kd
    .uniform_work_group_size: 1
    .uses_dynamic_stack: false
    .vgpr_count:     84
    .vgpr_spill_count: 0
    .wavefront_size: 32
    .workgroup_processor_mode: 1
amdhsa.target:   amdgcn-amd-amdhsa--gfx1030
amdhsa.version:
  - 1
  - 2
...

	.end_amdgpu_metadata
